;; amdgpu-corpus repo=ROCm/rocFFT kind=compiled arch=gfx1201 opt=O3
	.text
	.amdgcn_target "amdgcn-amd-amdhsa--gfx1201"
	.amdhsa_code_object_version 6
	.protected	bluestein_single_back_len1848_dim1_dp_op_CI_CI ; -- Begin function bluestein_single_back_len1848_dim1_dp_op_CI_CI
	.globl	bluestein_single_back_len1848_dim1_dp_op_CI_CI
	.p2align	8
	.type	bluestein_single_back_len1848_dim1_dp_op_CI_CI,@function
bluestein_single_back_len1848_dim1_dp_op_CI_CI: ; @bluestein_single_back_len1848_dim1_dp_op_CI_CI
; %bb.0:
	s_load_b128 s[8:11], s[0:1], 0x28
	v_mul_u32_u24_e32 v1, 0x11c, v0
	s_mov_b32 s2, exec_lo
	v_mov_b32_e32 v5, 0
	s_delay_alu instid0(VALU_DEP_2) | instskip(NEXT) | instid1(VALU_DEP_1)
	v_lshrrev_b32_e32 v1, 16, v1
	v_add_nc_u32_e32 v4, ttmp9, v1
	s_wait_kmcnt 0x0
	s_delay_alu instid0(VALU_DEP_1)
	v_cmpx_gt_u64_e64 s[8:9], v[4:5]
	s_cbranch_execz .LBB0_31
; %bb.1:
	s_clause 0x1
	s_load_b128 s[4:7], s[0:1], 0x18
	s_load_b64 s[16:17], s[0:1], 0x0
	v_mul_lo_u16 v1, 0xe7, v1
	v_mov_b32_e32 v5, v4
	s_movk_i32 s2, 0xfc17
	s_mov_b32 s3, -1
	s_delay_alu instid0(VALU_DEP_2) | instskip(NEXT) | instid1(VALU_DEP_1)
	v_sub_nc_u16 v50, v0, v1
	v_and_b32_e32 v7, 0xffff, v50
	s_clause 0x1
	scratch_store_b64 off, v[5:6], off offset:12
	scratch_store_b32 off, v7, off
	v_lshlrev_b32_e32 v255, 4, v7
	s_wait_kmcnt 0x0
	s_load_b128 s[12:15], s[4:5], 0x0
	s_clause 0x3
	global_load_b128 v[51:54], v255, s[16:17] offset:9856
	global_load_b128 v[55:58], v255, s[16:17] offset:19712
	global_load_b128 v[59:62], v255, s[16:17]
	global_load_b128 v[63:66], v255, s[16:17] offset:3696
	s_wait_kmcnt 0x0
	v_mad_co_u64_u32 v[0:1], null, s14, v4, 0
	v_mad_co_u64_u32 v[2:3], null, s12, v7, 0
	s_mul_u64 s[4:5], s[12:13], 0x268
	s_mul_u64 s[2:3], s[12:13], s[2:3]
	s_delay_alu instid0(SALU_CYCLE_1) | instskip(NEXT) | instid1(VALU_DEP_1)
	s_lshl_b64 s[2:3], s[2:3], 4
	v_mad_co_u64_u32 v[4:5], null, s15, v4, v[1:2]
	s_delay_alu instid0(VALU_DEP_1) | instskip(SKIP_1) | instid1(VALU_DEP_1)
	v_mad_co_u64_u32 v[5:6], null, s13, v7, v[3:4]
	v_mov_b32_e32 v1, v4
	v_lshlrev_b64_e32 v[0:1], 4, v[0:1]
	s_delay_alu instid0(VALU_DEP_3) | instskip(NEXT) | instid1(VALU_DEP_2)
	v_mov_b32_e32 v3, v5
	v_add_co_u32 v0, vcc_lo, s10, v0
	s_delay_alu instid0(VALU_DEP_2) | instskip(NEXT) | instid1(VALU_DEP_4)
	v_lshlrev_b64_e32 v[2:3], 4, v[2:3]
	v_add_co_ci_u32_e32 v1, vcc_lo, s11, v1, vcc_lo
	s_lshl_b64 s[10:11], s[4:5], 4
	s_delay_alu instid0(VALU_DEP_2) | instskip(SKIP_1) | instid1(VALU_DEP_2)
	v_add_co_u32 v0, vcc_lo, v0, v2
	s_wait_alu 0xfffd
	v_add_co_ci_u32_e32 v1, vcc_lo, v1, v3, vcc_lo
	s_wait_alu 0xfffe
	s_delay_alu instid0(VALU_DEP_2) | instskip(SKIP_1) | instid1(VALU_DEP_2)
	v_add_co_u32 v6, vcc_lo, v0, s10
	s_wait_alu 0xfffd
	v_add_co_ci_u32_e32 v7, vcc_lo, s11, v1, vcc_lo
	s_delay_alu instid0(VALU_DEP_2) | instskip(SKIP_1) | instid1(VALU_DEP_2)
	v_add_co_u32 v10, vcc_lo, v6, s10
	s_wait_alu 0xfffd
	v_add_co_ci_u32_e32 v11, vcc_lo, s11, v7, vcc_lo
	s_clause 0x1
	global_load_b128 v[2:5], v[0:1], off
	global_load_b128 v[6:9], v[6:7], off
	v_add_co_u32 v14, vcc_lo, v10, s2
	s_wait_alu 0xfffd
	v_add_co_ci_u32_e32 v15, vcc_lo, s3, v11, vcc_lo
	s_delay_alu instid0(VALU_DEP_2) | instskip(SKIP_1) | instid1(VALU_DEP_2)
	v_add_co_u32 v18, vcc_lo, v14, s10
	s_wait_alu 0xfffd
	v_add_co_ci_u32_e32 v19, vcc_lo, s11, v15, vcc_lo
	s_clause 0x1
	global_load_b128 v[10:13], v[10:11], off
	global_load_b128 v[14:17], v[14:15], off
	v_add_co_u32 v0, vcc_lo, v18, s10
	s_wait_alu 0xfffd
	v_add_co_ci_u32_e32 v1, vcc_lo, s11, v19, vcc_lo
	global_load_b128 v[67:70], v255, s[16:17] offset:13552
	global_load_b128 v[18:21], v[18:19], off
	global_load_b128 v[71:74], v255, s[16:17] offset:23408
	global_load_b128 v[22:25], v[0:1], off
	v_cmp_gt_u16_e32 vcc_lo, 0x9a, v50
	s_wait_loadcnt 0xa
	scratch_store_b128 off, v[55:58], off offset:36 ; 16-byte Folded Spill
	s_wait_loadcnt 0x9
	scratch_store_b128 off, v[59:62], off offset:52 ; 16-byte Folded Spill
	s_wait_loadcnt 0x8
	s_clause 0x1
	scratch_store_b128 off, v[63:66], off offset:68
	scratch_store_b128 off, v[51:54], off offset:20
	s_wait_loadcnt 0x7
	v_mul_f64_e32 v[26:27], v[4:5], v[61:62]
	v_mul_f64_e32 v[28:29], v[2:3], v[61:62]
	s_wait_loadcnt 0x6
	v_mul_f64_e32 v[30:31], v[8:9], v[53:54]
	v_mul_f64_e32 v[32:33], v[6:7], v[53:54]
	s_wait_loadcnt 0x5
	v_mul_f64_e32 v[34:35], v[12:13], v[57:58]
	s_wait_loadcnt 0x4
	v_mul_f64_e32 v[36:37], v[16:17], v[65:66]
	v_mul_f64_e32 v[38:39], v[14:15], v[65:66]
	;; [unrolled: 1-line block ×3, first 2 shown]
	s_wait_loadcnt 0x2
	v_mul_f64_e32 v[42:43], v[20:21], v[69:70]
	v_mul_f64_e32 v[44:45], v[18:19], v[69:70]
	s_wait_loadcnt 0x0
	v_mul_f64_e32 v[46:47], v[24:25], v[73:74]
	v_mul_f64_e32 v[48:49], v[22:23], v[73:74]
	s_clause 0x1
	scratch_store_b128 off, v[67:70], off offset:84
	scratch_store_b128 off, v[71:74], off offset:100
	s_load_b64 s[8:9], s[0:1], 0x38
	s_load_b128 s[4:7], s[6:7], 0x0
	v_fma_f64 v[2:3], v[2:3], v[59:60], v[26:27]
	v_fma_f64 v[4:5], v[4:5], v[59:60], -v[28:29]
	v_fma_f64 v[6:7], v[6:7], v[51:52], v[30:31]
	v_fma_f64 v[8:9], v[8:9], v[51:52], -v[32:33]
	v_add_co_u32 v26, s12, s16, v255
	s_wait_alu 0xf1ff
	v_add_co_ci_u32_e64 v27, null, s17, 0, s12
	v_fma_f64 v[10:11], v[10:11], v[55:56], v[34:35]
	v_fma_f64 v[14:15], v[14:15], v[63:64], v[36:37]
	v_fma_f64 v[16:17], v[16:17], v[63:64], -v[38:39]
	v_fma_f64 v[12:13], v[12:13], v[55:56], -v[40:41]
	v_fma_f64 v[18:19], v[18:19], v[67:68], v[42:43]
	v_fma_f64 v[20:21], v[20:21], v[67:68], -v[44:45]
	v_fma_f64 v[22:23], v[22:23], v[71:72], v[46:47]
	v_fma_f64 v[24:25], v[24:25], v[71:72], -v[48:49]
	scratch_store_b64 off, v[26:27], off offset:4 ; 8-byte Folded Spill
	ds_store_b128 v255, v[2:5]
	ds_store_b128 v255, v[14:17] offset:3696
	ds_store_b128 v255, v[6:9] offset:9856
	;; [unrolled: 1-line block ×5, first 2 shown]
	s_and_saveexec_b32 s12, vcc_lo
	s_cbranch_execz .LBB0_3
; %bb.2:
	scratch_load_b64 v[16:17], off, off offset:4 ; 8-byte Folded Reload
	v_add_co_u32 v0, s2, v0, s2
	s_wait_alu 0xf1ff
	v_add_co_ci_u32_e64 v1, s2, s3, v1, s2
	s_delay_alu instid0(VALU_DEP_2) | instskip(SKIP_1) | instid1(VALU_DEP_2)
	v_add_co_u32 v8, s2, v0, s10
	s_wait_alu 0xf1ff
	v_add_co_ci_u32_e64 v9, s2, s11, v1, s2
	global_load_b128 v[0:3], v[0:1], off
	v_add_co_u32 v20, s2, v8, s10
	s_wait_alu 0xf1ff
	v_add_co_ci_u32_e64 v21, s2, s11, v9, s2
	s_wait_loadcnt 0x1
	global_load_b128 v[4:7], v[16:17], off offset:7392
	global_load_b128 v[8:11], v[8:9], off
	s_clause 0x1
	global_load_b128 v[12:15], v[16:17], off offset:17248
	global_load_b128 v[16:19], v[16:17], off offset:27104
	global_load_b128 v[20:23], v[20:21], off
	s_wait_loadcnt 0x4
	v_mul_f64_e32 v[24:25], v[2:3], v[6:7]
	v_mul_f64_e32 v[6:7], v[0:1], v[6:7]
	s_wait_loadcnt 0x2
	v_mul_f64_e32 v[26:27], v[10:11], v[14:15]
	v_mul_f64_e32 v[14:15], v[8:9], v[14:15]
	;; [unrolled: 3-line block ×3, first 2 shown]
	v_fma_f64 v[0:1], v[0:1], v[4:5], v[24:25]
	v_fma_f64 v[2:3], v[2:3], v[4:5], -v[6:7]
	v_fma_f64 v[4:5], v[8:9], v[12:13], v[26:27]
	v_fma_f64 v[6:7], v[10:11], v[12:13], -v[14:15]
	;; [unrolled: 2-line block ×3, first 2 shown]
	ds_store_b128 v255, v[0:3] offset:7392
	ds_store_b128 v255, v[4:7] offset:17248
	;; [unrolled: 1-line block ×3, first 2 shown]
.LBB0_3:
	s_wait_alu 0xfffe
	s_or_b32 exec_lo, exec_lo, s12
	global_wb scope:SCOPE_SE
	s_wait_storecnt_dscnt 0x0
	s_wait_kmcnt 0x0
	s_barrier_signal -1
	s_barrier_wait -1
	global_inv scope:SCOPE_SE
	ds_load_b128 v[36:39], v255
	ds_load_b128 v[32:35], v255 offset:3696
	ds_load_b128 v[48:51], v255 offset:9856
	;; [unrolled: 1-line block ×5, first 2 shown]
                                        ; implicit-def: $vgpr52_vgpr53
                                        ; implicit-def: $vgpr60_vgpr61
                                        ; implicit-def: $vgpr44_vgpr45
	s_and_saveexec_b32 s2, vcc_lo
	s_cbranch_execz .LBB0_5
; %bb.4:
	ds_load_b128 v[44:47], v255 offset:7392
	ds_load_b128 v[52:55], v255 offset:17248
	ds_load_b128 v[60:63], v255 offset:27104
.LBB0_5:
	s_wait_alu 0xfffe
	s_or_b32 exec_lo, exec_lo, s2
	s_wait_dscnt 0x1
	v_add_f64_e32 v[0:1], v[48:49], v[24:25]
	v_add_f64_e64 v[14:15], v[50:51], -v[26:27]
	v_add_f64_e32 v[18:19], v[32:33], v[40:41]
	v_add_f64_e32 v[22:23], v[52:53], v[44:45]
	s_mov_b32 s2, 0xe8584caa
	s_mov_b32 s3, 0x3febb67a
	;; [unrolled: 1-line block ×3, first 2 shown]
	s_wait_alu 0xfffe
	s_mov_b32 s10, s2
	s_wait_dscnt 0x0
	v_add_f64_e32 v[4:5], v[40:41], v[28:29]
	v_add_f64_e32 v[8:9], v[52:53], v[60:61]
	;; [unrolled: 1-line block ×3, first 2 shown]
	v_add_f64_e64 v[40:41], v[40:41], -v[28:29]
	v_add_f64_e64 v[52:53], v[52:53], -v[60:61]
	v_add_f64_e32 v[2:3], v[50:51], v[26:27]
	v_add_f64_e32 v[6:7], v[42:43], v[30:31]
	;; [unrolled: 1-line block ×6, first 2 shown]
	v_fma_f64 v[0:1], v[0:1], -0.5, v[36:37]
	v_add_f64_e64 v[36:37], v[48:49], -v[24:25]
	v_add_f64_e32 v[56:57], v[18:19], v[28:29]
	v_add_f64_e32 v[28:29], v[60:61], v[22:23]
	v_fma_f64 v[4:5], v[4:5], -0.5, v[32:33]
	v_fma_f64 v[8:9], v[8:9], -0.5, v[44:45]
	v_add_f64_e32 v[24:25], v[12:13], v[24:25]
	v_fma_f64 v[2:3], v[2:3], -0.5, v[38:39]
	v_add_f64_e64 v[38:39], v[42:43], -v[30:31]
	v_fma_f64 v[6:7], v[6:7], -0.5, v[34:35]
	v_add_f64_e64 v[42:43], v[54:55], -v[62:63]
	v_fma_f64 v[10:11], v[10:11], -0.5, v[46:47]
	v_add_f64_e32 v[26:27], v[16:17], v[26:27]
	v_add_f64_e32 v[58:59], v[20:21], v[30:31]
	;; [unrolled: 1-line block ×3, first 2 shown]
	v_fma_f64 v[60:61], v[14:15], s[2:3], v[0:1]
	s_wait_alu 0xfffe
	v_fma_f64 v[48:49], v[14:15], s[10:11], v[0:1]
	scratch_load_b32 v0, off, off           ; 4-byte Folded Reload
	global_wb scope:SCOPE_SE
	s_wait_loadcnt 0x0
	s_barrier_signal -1
	s_barrier_wait -1
	global_inv scope:SCOPE_SE
	v_fma_f64 v[62:63], v[36:37], s[10:11], v[2:3]
	v_fma_f64 v[50:51], v[36:37], s[2:3], v[2:3]
	;; [unrolled: 1-line block ×10, first 2 shown]
	s_load_b64 s[2:3], s[0:1], 0x8
	v_add_co_u32 v22, null, 0xe7, v0
	v_mul_u32_u24_e32 v21, 3, v0
	v_add_co_u32 v0, null, 0x1ce, v0
	s_delay_alu instid0(VALU_DEP_3) | instskip(NEXT) | instid1(VALU_DEP_3)
	v_mul_u32_u24_e32 v1, 3, v22
	v_lshlrev_b32_e32 v20, 4, v21
	s_delay_alu instid0(VALU_DEP_3) | instskip(NEXT) | instid1(VALU_DEP_3)
	v_mul_u32_u24_e32 v19, 3, v0
	v_lshlrev_b32_e32 v18, 4, v1
	ds_store_b128 v20, v[24:27]
	ds_store_b128 v20, v[60:63] offset:16
	ds_store_b128 v20, v[48:51] offset:32
	ds_store_b128 v18, v[56:59]
	ds_store_b128 v18, v[36:39] offset:16
	ds_store_b128 v18, v[32:35] offset:32
	s_and_saveexec_b32 s0, vcc_lo
	s_cbranch_execz .LBB0_7
; %bb.6:
	v_lshlrev_b32_e32 v0, 4, v19
	ds_store_b128 v0, v[28:31]
	ds_store_b128 v0, v[40:43] offset:16
	ds_store_b128 v0, v[44:47] offset:32
.LBB0_7:
	s_wait_alu 0xfffe
	s_or_b32 exec_lo, exec_lo, s0
	scratch_load_b32 v0, off, off           ; 4-byte Folded Reload
	global_wb scope:SCOPE_SE
	s_wait_loadcnt_dscnt 0x0
	s_wait_kmcnt 0x0
	s_barrier_signal -1
	s_barrier_wait -1
	global_inv scope:SCOPE_SE
                                        ; implicit-def: $vgpr64_vgpr65
                                        ; implicit-def: $vgpr68_vgpr69
	v_cmp_gt_u16_e64 s0, 0xa8, v0
	s_delay_alu instid0(VALU_DEP_1)
	s_and_saveexec_b32 s1, s0
	s_cbranch_execz .LBB0_9
; %bb.8:
	ds_load_b128 v[24:27], v255
	ds_load_b128 v[60:63], v255 offset:2688
	ds_load_b128 v[48:51], v255 offset:5376
	;; [unrolled: 1-line block ×10, first 2 shown]
.LBB0_9:
	s_wait_alu 0xfffe
	s_or_b32 exec_lo, exec_lo, s1
	scratch_load_b32 v1, off, off           ; 4-byte Folded Reload
	s_mov_b32 s28, 0xf8bb580b
	s_mov_b32 s29, 0xbfe14ced
	;; [unrolled: 1-line block ×28, first 2 shown]
	s_wait_loadcnt 0x0
	v_and_b32_e32 v23, 0xff, v1
	s_delay_alu instid0(VALU_DEP_1) | instskip(NEXT) | instid1(VALU_DEP_1)
	v_mul_lo_u16 v0, 0xab, v23
	v_lshrrev_b16 v196, 9, v0
	s_delay_alu instid0(VALU_DEP_1) | instskip(SKIP_1) | instid1(VALU_DEP_2)
	v_mul_lo_u16 v0, v196, 3
	v_and_b32_e32 v196, 0xffff, v196
	v_sub_nc_u16 v0, v1, v0
	s_delay_alu instid0(VALU_DEP_1) | instskip(SKIP_2) | instid1(VALU_DEP_1)
	v_and_b32_e32 v0, 0xff, v0
	scratch_store_b32 off, v0, off offset:116 ; 4-byte Folded Spill
	v_mul_u32_u24_e32 v0, 10, v0
	v_lshlrev_b32_e32 v2, 4, v0
	s_clause 0x3
	global_load_b128 v[52:55], v2, s[2:3]
	global_load_b128 v[76:79], v2, s[2:3] offset:16
	global_load_b128 v[84:87], v2, s[2:3] offset:144
	;; [unrolled: 1-line block ×3, first 2 shown]
	s_wait_loadcnt_dscnt 0x309
	v_mul_f64_e32 v[0:1], v[62:63], v[54:55]
	s_delay_alu instid0(VALU_DEP_1) | instskip(SKIP_1) | instid1(VALU_DEP_1)
	v_fma_f64 v[108:109], v[60:61], v[52:53], -v[0:1]
	v_mul_f64_e32 v[0:1], v[60:61], v[54:55]
	v_fma_f64 v[110:111], v[62:63], v[52:53], v[0:1]
	s_wait_loadcnt_dscnt 0x100
	v_mul_f64_e32 v[0:1], v[68:69], v[86:87]
	s_delay_alu instid0(VALU_DEP_1) | instskip(SKIP_1) | instid1(VALU_DEP_2)
	v_fma_f64 v[88:89], v[70:71], v[84:85], v[0:1]
	v_mul_f64_e32 v[0:1], v[70:71], v[86:87]
	v_add_f64_e64 v[174:175], v[110:111], -v[88:89]
	s_delay_alu instid0(VALU_DEP_2) | instskip(SKIP_1) | instid1(VALU_DEP_3)
	v_fma_f64 v[90:91], v[68:69], v[84:85], -v[0:1]
	v_mul_f64_e32 v[0:1], v[50:51], v[78:79]
	v_mul_f64_e32 v[168:169], s[28:29], v[174:175]
	s_delay_alu instid0(VALU_DEP_3) | instskip(NEXT) | instid1(VALU_DEP_3)
	v_add_f64_e32 v[172:173], v[108:109], v[90:91]
	v_fma_f64 v[96:97], v[48:49], v[76:77], -v[0:1]
	v_mul_f64_e32 v[0:1], v[48:49], v[78:79]
	v_add_f64_e64 v[4:5], v[108:109], -v[90:91]
	s_delay_alu instid0(VALU_DEP_2)
	v_fma_f64 v[98:99], v[50:51], v[76:77], v[0:1]
	s_clause 0x1
	global_load_b128 v[60:63], v2, s[2:3] offset:32
	global_load_b128 v[48:51], v2, s[2:3] offset:48
	s_wait_loadcnt 0x2
	v_mul_f64_e32 v[0:1], v[64:65], v[82:83]
	s_delay_alu instid0(VALU_DEP_1) | instskip(SKIP_1) | instid1(VALU_DEP_2)
	v_fma_f64 v[92:93], v[66:67], v[80:81], v[0:1]
	v_mul_f64_e32 v[0:1], v[66:67], v[82:83]
	v_add_f64_e64 v[164:165], v[98:99], -v[92:93]
	s_delay_alu instid0(VALU_DEP_2)
	v_fma_f64 v[94:95], v[64:65], v[80:81], -v[0:1]
	s_clause 0x1
	global_load_b128 v[72:75], v2, s[2:3] offset:112
	global_load_b128 v[64:67], v2, s[2:3] offset:96
	v_add_f64_e32 v[128:129], v[98:99], v[92:93]
	v_mul_f64_e32 v[176:177], s[26:27], v[164:165]
	v_add_f64_e64 v[136:137], v[96:97], -v[94:95]
	v_mul_f64_e32 v[188:189], s[40:41], v[164:165]
	v_mul_f64_e32 v[205:206], s[36:37], v[164:165]
	s_delay_alu instid0(VALU_DEP_3) | instskip(SKIP_4) | instid1(VALU_DEP_4)
	v_mul_f64_e32 v[130:131], s[22:23], v[136:137]
	v_mul_f64_e32 v[182:183], s[26:27], v[136:137]
	;; [unrolled: 1-line block ×4, first 2 shown]
	s_wait_alu 0xfffe
	v_fma_f64 v[10:11], v[128:129], s[10:11], -v[130:131]
	s_delay_alu instid0(VALU_DEP_4) | instskip(NEXT) | instid1(VALU_DEP_4)
	v_fma_f64 v[14:15], v[128:129], s[20:21], -v[182:183]
	v_fma_f64 v[112:113], v[128:129], s[24:25], -v[203:204]
	s_delay_alu instid0(VALU_DEP_4) | instskip(SKIP_2) | instid1(VALU_DEP_1)
	v_fma_f64 v[197:198], v[128:129], s[14:15], -v[221:222]
	s_wait_loadcnt 0x3
	v_mul_f64_e32 v[0:1], v[58:59], v[62:63]
	v_fma_f64 v[100:101], v[56:57], v[60:61], -v[0:1]
	v_mul_f64_e32 v[0:1], v[56:57], v[62:63]
	s_delay_alu instid0(VALU_DEP_1)
	v_fma_f64 v[102:103], v[58:59], v[60:61], v[0:1]
	s_clause 0x1
	global_load_b128 v[56:59], v2, s[2:3] offset:64
	global_load_b128 v[68:71], v2, s[2:3] offset:80
	s_wait_loadcnt 0x3
	v_mul_f64_e32 v[0:1], v[44:45], v[74:75]
	scratch_store_b32 off, v196, off offset:120 ; 4-byte Folded Spill
	global_wb scope:SCOPE_SE
	s_wait_loadcnt 0x0
	s_wait_storecnt 0x0
	s_barrier_signal -1
	s_barrier_wait -1
	global_inv scope:SCOPE_SE
	v_fma_f64 v[104:105], v[46:47], v[72:73], v[0:1]
	v_mul_f64_e32 v[0:1], v[46:47], v[74:75]
	s_delay_alu instid0(VALU_DEP_2) | instskip(NEXT) | instid1(VALU_DEP_2)
	v_add_f64_e64 v[170:171], v[102:103], -v[104:105]
	v_fma_f64 v[44:45], v[44:45], v[72:73], -v[0:1]
	v_mul_f64_e32 v[0:1], v[38:39], v[50:51]
	v_add_f64_e32 v[138:139], v[102:103], v[104:105]
	s_delay_alu instid0(VALU_DEP_4) | instskip(NEXT) | instid1(VALU_DEP_4)
	v_mul_f64_e32 v[134:135], s[18:19], v[170:171]
	v_add_f64_e32 v[132:133], v[100:101], v[44:45]
	s_delay_alu instid0(VALU_DEP_4)
	v_fma_f64 v[46:47], v[36:37], v[48:49], -v[0:1]
	v_mul_f64_e32 v[0:1], v[36:37], v[50:51]
	v_add_f64_e64 v[146:147], v[100:101], -v[44:45]
	v_mul_f64_e32 v[180:181], s[40:41], v[170:171]
	v_mul_f64_e32 v[199:200], s[34:35], v[170:171]
	v_mul_f64_e32 v[211:212], s[28:29], v[170:171]
	v_fma_f64 v[106:107], v[38:39], v[48:49], v[0:1]
	v_mul_f64_e32 v[0:1], v[42:43], v[66:67]
	v_mul_f64_e32 v[140:141], s[18:19], v[146:147]
	;; [unrolled: 1-line block ×5, first 2 shown]
	v_fma_f64 v[36:37], v[40:41], v[64:65], -v[0:1]
	v_mul_f64_e32 v[0:1], v[40:41], v[66:67]
	s_delay_alu instid0(VALU_DEP_2) | instskip(NEXT) | instid1(VALU_DEP_2)
	v_add_f64_e32 v[142:143], v[46:47], v[36:37]
	v_fma_f64 v[38:39], v[42:43], v[64:65], v[0:1]
	v_mul_f64_e32 v[42:43], s[22:23], v[164:165]
	v_add_f64_e64 v[160:161], v[46:47], -v[36:37]
	s_delay_alu instid0(VALU_DEP_3) | instskip(SKIP_1) | instid1(VALU_DEP_3)
	v_add_f64_e64 v[166:167], v[106:107], -v[38:39]
	v_add_f64_e32 v[152:153], v[106:107], v[38:39]
	v_mul_f64_e32 v[154:155], s[26:27], v[160:161]
	v_mul_f64_e32 v[192:193], s[36:37], v[160:161]
	;; [unrolled: 1-line block ×9, first 2 shown]
	s_delay_alu instid0(VALU_DEP_1) | instskip(SKIP_1) | instid1(VALU_DEP_1)
	v_fma_f64 v[40:41], v[32:33], v[56:57], -v[0:1]
	v_mul_f64_e32 v[0:1], v[32:33], v[58:59]
	v_fma_f64 v[34:35], v[34:35], v[56:57], v[0:1]
	v_mul_f64_e32 v[0:1], v[30:31], v[70:71]
	s_delay_alu instid0(VALU_DEP_1) | instskip(SKIP_1) | instid1(VALU_DEP_2)
	v_fma_f64 v[32:33], v[28:29], v[68:69], -v[0:1]
	v_mul_f64_e32 v[0:1], v[28:29], v[70:71]
	v_add_f64_e32 v[148:149], v[40:41], v[32:33]
	s_delay_alu instid0(VALU_DEP_2) | instskip(SKIP_3) | instid1(VALU_DEP_4)
	v_fma_f64 v[28:29], v[30:31], v[68:69], v[0:1]
	v_fma_f64 v[0:1], v[172:173], s[12:13], v[168:169]
	v_add_f64_e32 v[30:31], v[96:97], v[94:95]
	v_add_f64_e64 v[162:163], v[40:41], -v[32:33]
	v_add_f64_e64 v[178:179], v[34:35], -v[28:29]
	s_delay_alu instid0(VALU_DEP_4) | instskip(NEXT) | instid1(VALU_DEP_4)
	v_add_f64_e32 v[0:1], v[24:25], v[0:1]
	v_fma_f64 v[2:3], v[30:31], s[10:11], v[42:43]
	v_add_f64_e32 v[156:157], v[34:35], v[28:29]
	v_mul_f64_e32 v[158:159], s[38:39], v[162:163]
	v_mul_f64_e32 v[194:195], s[30:31], v[162:163]
	;; [unrolled: 1-line block ×6, first 2 shown]
	v_add_f64_e32 v[6:7], v[2:3], v[0:1]
	v_add_f64_e32 v[2:3], v[110:111], v[88:89]
	v_mul_f64_e32 v[0:1], s[28:29], v[4:5]
	v_mul_f64_e32 v[201:202], s[26:27], v[178:179]
	;; [unrolled: 1-line block ×3, first 2 shown]
	s_delay_alu instid0(VALU_DEP_3) | instskip(NEXT) | instid1(VALU_DEP_1)
	v_fma_f64 v[8:9], v[2:3], s[12:13], -v[0:1]
	v_add_f64_e32 v[8:9], v[26:27], v[8:9]
	s_delay_alu instid0(VALU_DEP_1) | instskip(SKIP_1) | instid1(VALU_DEP_1)
	v_add_f64_e32 v[8:9], v[10:11], v[8:9]
	v_fma_f64 v[10:11], v[132:133], s[14:15], v[134:135]
	v_add_f64_e32 v[6:7], v[10:11], v[6:7]
	v_fma_f64 v[10:11], v[138:139], s[14:15], -v[140:141]
	s_delay_alu instid0(VALU_DEP_1) | instskip(SKIP_1) | instid1(VALU_DEP_1)
	v_add_f64_e32 v[8:9], v[10:11], v[8:9]
	v_fma_f64 v[10:11], v[142:143], s[20:21], v[144:145]
	v_add_f64_e32 v[6:7], v[10:11], v[6:7]
	v_fma_f64 v[10:11], v[152:153], s[20:21], -v[154:155]
	s_delay_alu instid0(VALU_DEP_1) | instskip(SKIP_1) | instid1(VALU_DEP_1)
	v_add_f64_e32 v[8:9], v[10:11], v[8:9]
	v_fma_f64 v[10:11], v[148:149], s[24:25], v[150:151]
	v_add_f64_e32 v[116:117], v[10:11], v[6:7]
	v_fma_f64 v[6:7], v[156:157], s[24:25], -v[158:159]
	v_fma_f64 v[10:11], v[30:31], s[20:21], v[176:177]
	s_delay_alu instid0(VALU_DEP_2) | instskip(SKIP_1) | instid1(VALU_DEP_1)
	v_add_f64_e32 v[118:119], v[6:7], v[8:9]
	v_mul_f64_e32 v[6:7], s[22:23], v[174:175]
	v_fma_f64 v[8:9], v[172:173], s[10:11], v[6:7]
	s_delay_alu instid0(VALU_DEP_1) | instskip(NEXT) | instid1(VALU_DEP_1)
	v_add_f64_e32 v[8:9], v[24:25], v[8:9]
	v_add_f64_e32 v[10:11], v[10:11], v[8:9]
	v_mul_f64_e32 v[8:9], s[22:23], v[4:5]
	s_delay_alu instid0(VALU_DEP_1) | instskip(NEXT) | instid1(VALU_DEP_1)
	v_fma_f64 v[12:13], v[2:3], s[10:11], -v[8:9]
	v_add_f64_e32 v[12:13], v[26:27], v[12:13]
	s_delay_alu instid0(VALU_DEP_1) | instskip(SKIP_1) | instid1(VALU_DEP_1)
	v_add_f64_e32 v[12:13], v[14:15], v[12:13]
	v_fma_f64 v[14:15], v[132:133], s[24:25], v[180:181]
	v_add_f64_e32 v[10:11], v[14:15], v[10:11]
	v_fma_f64 v[14:15], v[138:139], s[24:25], -v[190:191]
	s_delay_alu instid0(VALU_DEP_1) | instskip(SKIP_1) | instid1(VALU_DEP_1)
	v_add_f64_e32 v[12:13], v[14:15], v[12:13]
	v_fma_f64 v[14:15], v[142:143], s[14:15], v[184:185]
	v_add_f64_e32 v[10:11], v[14:15], v[10:11]
	v_fma_f64 v[14:15], v[152:153], s[14:15], -v[192:193]
	s_delay_alu instid0(VALU_DEP_1) | instskip(SKIP_1) | instid1(VALU_DEP_1)
	v_add_f64_e32 v[12:13], v[14:15], v[12:13]
	v_fma_f64 v[14:15], v[148:149], s[12:13], v[186:187]
	v_add_f64_e32 v[120:121], v[14:15], v[10:11]
	v_fma_f64 v[10:11], v[156:157], s[12:13], -v[194:195]
	v_fma_f64 v[14:15], v[30:31], s[24:25], v[188:189]
	s_delay_alu instid0(VALU_DEP_2) | instskip(SKIP_1) | instid1(VALU_DEP_1)
	v_add_f64_e32 v[122:123], v[10:11], v[12:13]
	v_mul_f64_e32 v[10:11], s[18:19], v[174:175]
	v_fma_f64 v[12:13], v[172:173], s[14:15], v[10:11]
	s_delay_alu instid0(VALU_DEP_1) | instskip(NEXT) | instid1(VALU_DEP_1)
	v_add_f64_e32 v[12:13], v[24:25], v[12:13]
	v_add_f64_e32 v[14:15], v[14:15], v[12:13]
	v_mul_f64_e32 v[12:13], s[18:19], v[4:5]
	s_delay_alu instid0(VALU_DEP_1) | instskip(NEXT) | instid1(VALU_DEP_1)
	;; [unrolled: 27-line block ×3, first 2 shown]
	v_fma_f64 v[114:115], v[2:3], s[20:21], -v[16:17]
	v_add_f64_e32 v[114:115], v[26:27], v[114:115]
	s_delay_alu instid0(VALU_DEP_1) | instskip(SKIP_1) | instid1(VALU_DEP_1)
	v_add_f64_e32 v[114:115], v[197:198], v[114:115]
	v_fma_f64 v[197:198], v[132:133], s[12:13], v[211:212]
	v_add_f64_e32 v[112:113], v[197:198], v[112:113]
	v_fma_f64 v[197:198], v[138:139], s[12:13], -v[223:224]
	s_delay_alu instid0(VALU_DEP_1) | instskip(SKIP_1) | instid1(VALU_DEP_1)
	v_add_f64_e32 v[114:115], v[197:198], v[114:115]
	v_fma_f64 v[197:198], v[142:143], s[24:25], v[219:220]
	v_add_f64_e32 v[112:113], v[197:198], v[112:113]
	v_fma_f64 v[197:198], v[152:153], s[24:25], -v[225:226]
	;; [unrolled: 5-line block ×3, first 2 shown]
	s_delay_alu instid0(VALU_DEP_1)
	v_add_f64_e32 v[114:115], v[197:198], v[114:115]
	s_and_saveexec_b32 s1, s0
	s_cbranch_execz .LBB0_11
; %bb.10:
	v_mul_f64_e32 v[196:197], s[24:25], v[2:3]
	v_mul_f64_e32 v[166:167], s[34:35], v[166:167]
	s_delay_alu instid0(VALU_DEP_2) | instskip(SKIP_2) | instid1(VALU_DEP_1)
	v_fma_f64 v[229:230], v[4:5], s[40:41], v[196:197]
	v_fma_f64 v[4:5], v[4:5], s[38:39], v[196:197]
	v_mul_f64_e32 v[196:197], s[20:21], v[2:3]
	v_add_f64_e32 v[16:17], v[16:17], v[196:197]
	v_mul_f64_e32 v[196:197], s[14:15], v[2:3]
	s_delay_alu instid0(VALU_DEP_2) | instskip(NEXT) | instid1(VALU_DEP_2)
	v_add_f64_e32 v[16:17], v[26:27], v[16:17]
	v_add_f64_e32 v[12:13], v[12:13], v[196:197]
	v_mul_f64_e32 v[196:197], s[10:11], v[2:3]
	v_mul_f64_e32 v[2:3], s[12:13], v[2:3]
	s_delay_alu instid0(VALU_DEP_3) | instskip(NEXT) | instid1(VALU_DEP_3)
	v_add_f64_e32 v[12:13], v[26:27], v[12:13]
	v_add_f64_e32 v[8:9], v[8:9], v[196:197]
	v_mul_f64_e32 v[196:197], s[10:11], v[172:173]
	s_delay_alu instid0(VALU_DEP_4) | instskip(SKIP_1) | instid1(VALU_DEP_3)
	v_add_f64_e32 v[0:1], v[0:1], v[2:3]
	v_mul_f64_e32 v[2:3], s[38:39], v[174:175]
	v_add_f64_e64 v[6:7], v[196:197], -v[6:7]
	v_mul_f64_e32 v[196:197], s[14:15], v[172:173]
	s_delay_alu instid0(VALU_DEP_3)
	v_fma_f64 v[174:175], v[172:173], s[24:25], v[2:3]
	v_fma_f64 v[2:3], v[172:173], s[24:25], -v[2:3]
	v_add_f64_e32 v[231:232], v[26:27], v[0:1]
	v_add_f64_e32 v[6:7], v[24:25], v[6:7]
	v_add_f64_e64 v[10:11], v[196:197], -v[10:11]
	v_mul_f64_e32 v[196:197], s[20:21], v[172:173]
	v_mul_f64_e32 v[172:173], s[12:13], v[172:173]
	s_delay_alu instid0(VALU_DEP_2) | instskip(NEXT) | instid1(VALU_DEP_2)
	v_add_f64_e64 v[14:15], v[196:197], -v[14:15]
	v_add_f64_e64 v[168:169], v[172:173], -v[168:169]
	v_add_f64_e32 v[172:173], v[26:27], v[110:111]
	v_add_f64_e32 v[196:197], v[24:25], v[108:109]
	;; [unrolled: 1-line block ×8, first 2 shown]
	v_mul_f64_e32 v[26:27], s[30:31], v[164:165]
	v_mul_f64_e32 v[164:165], s[10:11], v[152:153]
	v_add_f64_e32 v[14:15], v[24:25], v[14:15]
	v_add_f64_e32 v[168:169], v[24:25], v[168:169]
	v_mul_f64_e32 v[24:25], s[12:13], v[128:129]
	v_fma_f64 v[2:3], v[30:31], s[12:13], v[26:27]
	v_fma_f64 v[26:27], v[30:31], s[12:13], -v[26:27]
	s_delay_alu instid0(VALU_DEP_3) | instskip(SKIP_2) | instid1(VALU_DEP_3)
	v_fma_f64 v[0:1], v[136:137], s[28:29], v[24:25]
	s_mov_b32 s29, 0x3fe82f19
	s_mov_b32 s28, s26
	v_add_f64_e32 v[2:3], v[2:3], v[110:111]
	v_mul_f64_e32 v[110:111], s[26:27], v[170:171]
	v_mul_f64_e32 v[170:171], s[18:19], v[178:179]
	;; [unrolled: 1-line block ×3, first 2 shown]
	v_add_f64_e32 v[26:27], v[26:27], v[229:230]
	v_add_f64_e32 v[0:1], v[0:1], v[108:109]
	v_mul_f64_e32 v[108:109], s[20:21], v[138:139]
	s_wait_alu 0xfffe
	s_delay_alu instid0(VALU_DEP_1) | instskip(NEXT) | instid1(VALU_DEP_1)
	v_fma_f64 v[10:11], v[146:147], s[28:29], v[108:109]
	v_add_f64_e32 v[0:1], v[10:11], v[0:1]
	v_fma_f64 v[10:11], v[132:133], s[20:21], v[110:111]
	s_delay_alu instid0(VALU_DEP_1) | instskip(SKIP_1) | instid1(VALU_DEP_1)
	v_add_f64_e32 v[2:3], v[10:11], v[2:3]
	v_fma_f64 v[10:11], v[160:161], s[22:23], v[164:165]
	v_add_f64_e32 v[0:1], v[10:11], v[0:1]
	v_fma_f64 v[10:11], v[142:143], s[10:11], v[166:167]
	s_delay_alu instid0(VALU_DEP_1) | instskip(SKIP_1) | instid1(VALU_DEP_1)
	v_add_f64_e32 v[10:11], v[10:11], v[2:3]
	;; [unrolled: 5-line block ×3, first 2 shown]
	v_mul_f64_e32 v[10:11], s[20:21], v[128:129]
	v_add_f64_e32 v[10:11], v[182:183], v[10:11]
	v_mul_f64_e32 v[182:183], s[20:21], v[30:31]
	s_delay_alu instid0(VALU_DEP_2) | instskip(NEXT) | instid1(VALU_DEP_2)
	v_add_f64_e32 v[4:5], v[10:11], v[4:5]
	v_add_f64_e64 v[176:177], v[182:183], -v[176:177]
	v_mul_f64_e32 v[182:183], s[24:25], v[138:139]
	v_mul_f64_e32 v[10:11], s[12:13], v[156:157]
	s_delay_alu instid0(VALU_DEP_3) | instskip(NEXT) | instid1(VALU_DEP_3)
	v_add_f64_e32 v[6:7], v[176:177], v[6:7]
	v_add_f64_e32 v[182:183], v[190:191], v[182:183]
	v_mul_f64_e32 v[190:191], s[24:25], v[132:133]
	s_delay_alu instid0(VALU_DEP_4) | instskip(SKIP_1) | instid1(VALU_DEP_4)
	v_add_f64_e32 v[10:11], v[194:195], v[10:11]
	v_mul_f64_e32 v[176:177], s[12:13], v[148:149]
	v_add_f64_e32 v[4:5], v[182:183], v[4:5]
	s_delay_alu instid0(VALU_DEP_4) | instskip(SKIP_1) | instid1(VALU_DEP_4)
	v_add_f64_e64 v[180:181], v[190:191], -v[180:181]
	v_mul_f64_e32 v[190:191], s[14:15], v[152:153]
	v_add_f64_e64 v[176:177], v[176:177], -v[186:187]
	v_mul_f64_e32 v[182:183], s[10:11], v[132:133]
	v_mul_f64_e32 v[186:187], s[12:13], v[142:143]
	v_add_f64_e32 v[6:7], v[180:181], v[6:7]
	v_add_f64_e32 v[190:191], v[192:193], v[190:191]
	v_mul_f64_e32 v[192:193], s[14:15], v[142:143]
	v_add_f64_e64 v[182:183], v[182:183], -v[199:200]
	v_add_f64_e64 v[186:187], v[186:187], -v[207:208]
	s_delay_alu instid0(VALU_DEP_4) | instskip(NEXT) | instid1(VALU_DEP_4)
	v_add_f64_e32 v[4:5], v[190:191], v[4:5]
	v_add_f64_e64 v[184:185], v[192:193], -v[184:185]
	s_delay_alu instid0(VALU_DEP_1) | instskip(NEXT) | instid1(VALU_DEP_3)
	v_add_f64_e32 v[180:181], v[184:185], v[6:7]
	v_add_f64_e32 v[6:7], v[10:11], v[4:5]
	v_mul_f64_e32 v[10:11], s[24:25], v[128:129]
	v_mul_f64_e32 v[184:185], s[12:13], v[152:153]
	s_delay_alu instid0(VALU_DEP_4) | instskip(SKIP_1) | instid1(VALU_DEP_4)
	v_add_f64_e32 v[4:5], v[176:177], v[180:181]
	v_mul_f64_e32 v[176:177], s[24:25], v[30:31]
	v_add_f64_e32 v[10:11], v[203:204], v[10:11]
	v_mul_f64_e32 v[180:181], s[10:11], v[138:139]
	v_add_f64_e32 v[184:185], v[213:214], v[184:185]
	s_delay_alu instid0(VALU_DEP_4) | instskip(NEXT) | instid1(VALU_DEP_4)
	v_add_f64_e64 v[176:177], v[176:177], -v[188:189]
	v_add_f64_e32 v[10:11], v[10:11], v[12:13]
	s_delay_alu instid0(VALU_DEP_4) | instskip(SKIP_1) | instid1(VALU_DEP_4)
	v_add_f64_e32 v[180:181], v[209:210], v[180:181]
	v_mul_f64_e32 v[12:13], s[20:21], v[156:157]
	v_add_f64_e32 v[8:9], v[176:177], v[8:9]
	v_mul_f64_e32 v[176:177], s[20:21], v[148:149]
	s_delay_alu instid0(VALU_DEP_4) | instskip(NEXT) | instid1(VALU_DEP_4)
	v_add_f64_e32 v[10:11], v[180:181], v[10:11]
	v_add_f64_e32 v[12:13], v[217:218], v[12:13]
	v_mul_f64_e32 v[180:181], s[12:13], v[138:139]
	v_add_f64_e32 v[8:9], v[182:183], v[8:9]
	v_add_f64_e64 v[176:177], v[176:177], -v[201:202]
	v_add_f64_e32 v[10:11], v[184:185], v[10:11]
	v_mul_f64_e32 v[182:183], s[12:13], v[132:133]
	v_add_f64_e32 v[180:181], v[223:224], v[180:181]
	v_mul_f64_e32 v[184:185], s[24:25], v[152:153]
	;; [unrolled: 2-line block ×4, first 2 shown]
	v_add_f64_e64 v[182:183], v[182:183], -v[211:212]
	v_add_f64_e32 v[184:185], v[225:226], v[184:185]
	v_add_f64_e32 v[8:9], v[176:177], v[8:9]
	v_mul_f64_e32 v[176:177], s[14:15], v[30:31]
	v_add_f64_e64 v[186:187], v[186:187], -v[219:220]
	v_add_f64_e32 v[12:13], v[221:222], v[12:13]
	v_mul_f64_e32 v[30:31], s[10:11], v[30:31]
	s_delay_alu instid0(VALU_DEP_4) | instskip(NEXT) | instid1(VALU_DEP_3)
	v_add_f64_e64 v[176:177], v[176:177], -v[205:206]
	v_add_f64_e32 v[12:13], v[12:13], v[16:17]
	v_mul_f64_e32 v[16:17], s[10:11], v[156:157]
	s_delay_alu instid0(VALU_DEP_4)
	v_add_f64_e64 v[30:31], v[30:31], -v[42:43]
	v_mul_f64_e32 v[42:43], s[14:15], v[138:139]
	v_add_f64_e32 v[14:15], v[176:177], v[14:15]
	v_mul_f64_e32 v[176:177], s[10:11], v[148:149]
	v_add_f64_e32 v[12:13], v[180:181], v[12:13]
	v_add_f64_e32 v[16:17], v[227:228], v[16:17]
	;; [unrolled: 1-line block ×5, first 2 shown]
	v_add_f64_e64 v[176:177], v[176:177], -v[215:216]
	v_add_f64_e32 v[12:13], v[184:185], v[12:13]
	s_delay_alu instid0(VALU_DEP_3) | instskip(NEXT) | instid1(VALU_DEP_2)
	v_add_f64_e32 v[180:181], v[186:187], v[14:15]
	v_add_f64_e32 v[14:15], v[16:17], v[12:13]
	v_fma_f64 v[16:17], v[136:137], s[30:31], v[24:25]
	v_fma_f64 v[24:25], v[146:147], s[26:27], v[108:109]
	;; [unrolled: 1-line block ×4, first 2 shown]
	v_add_f64_e32 v[12:13], v[176:177], v[180:181]
	v_add_f64_e32 v[16:17], v[16:17], v[174:175]
	s_delay_alu instid0(VALU_DEP_1) | instskip(SKIP_2) | instid1(VALU_DEP_3)
	v_add_f64_e32 v[16:17], v[24:25], v[16:17]
	v_fma_f64 v[24:25], v[132:133], s[20:21], -v[110:111]
	v_mul_f64_e32 v[110:111], s[20:21], v[152:153]
	v_add_f64_e32 v[16:17], v[108:109], v[16:17]
	s_delay_alu instid0(VALU_DEP_3) | instskip(SKIP_1) | instid1(VALU_DEP_4)
	v_add_f64_e32 v[24:25], v[24:25], v[26:27]
	v_fma_f64 v[26:27], v[142:143], s[10:11], -v[166:167]
	v_add_f64_e32 v[110:111], v[154:155], v[110:111]
	v_fma_f64 v[108:109], v[148:149], s[14:15], -v[170:171]
	s_delay_alu instid0(VALU_DEP_3) | instskip(SKIP_3) | instid1(VALU_DEP_4)
	v_add_f64_e32 v[24:25], v[26:27], v[24:25]
	v_add_f64_e32 v[26:27], v[136:137], v[16:17]
	v_mul_f64_e32 v[16:17], s[10:11], v[128:129]
	v_mul_f64_e32 v[128:129], s[20:21], v[142:143]
	v_add_f64_e32 v[24:25], v[108:109], v[24:25]
	v_mul_f64_e32 v[108:109], s[14:15], v[132:133]
	s_delay_alu instid0(VALU_DEP_4) | instskip(SKIP_2) | instid1(VALU_DEP_4)
	v_add_f64_e32 v[16:17], v[130:131], v[16:17]
	v_mul_f64_e32 v[130:131], s[24:25], v[156:157]
	v_add_f64_e64 v[128:129], v[128:129], -v[144:145]
	v_add_f64_e64 v[108:109], v[108:109], -v[134:135]
	s_delay_alu instid0(VALU_DEP_4) | instskip(NEXT) | instid1(VALU_DEP_4)
	v_add_f64_e32 v[16:17], v[16:17], v[231:232]
	v_add_f64_e32 v[130:131], v[158:159], v[130:131]
	s_delay_alu instid0(VALU_DEP_3) | instskip(NEXT) | instid1(VALU_DEP_3)
	v_add_f64_e32 v[30:31], v[108:109], v[30:31]
	v_add_f64_e32 v[16:17], v[42:43], v[16:17]
	v_mul_f64_e32 v[42:43], s[24:25], v[148:149]
	s_delay_alu instid0(VALU_DEP_3) | instskip(NEXT) | instid1(VALU_DEP_3)
	v_add_f64_e32 v[30:31], v[128:129], v[30:31]
	v_add_f64_e32 v[16:17], v[110:111], v[16:17]
	s_delay_alu instid0(VALU_DEP_3) | instskip(NEXT) | instid1(VALU_DEP_2)
	v_add_f64_e64 v[42:43], v[42:43], -v[150:151]
	v_add_f64_e32 v[110:111], v[130:131], v[16:17]
	v_add_f64_e32 v[16:17], v[172:173], v[98:99]
	s_delay_alu instid0(VALU_DEP_3) | instskip(SKIP_1) | instid1(VALU_DEP_3)
	v_add_f64_e32 v[108:109], v[42:43], v[30:31]
	v_add_f64_e32 v[30:31], v[196:197], v[96:97]
	;; [unrolled: 1-line block ×3, first 2 shown]
	s_delay_alu instid0(VALU_DEP_2) | instskip(NEXT) | instid1(VALU_DEP_2)
	v_add_f64_e32 v[30:31], v[30:31], v[100:101]
	v_add_f64_e32 v[16:17], v[16:17], v[106:107]
	s_delay_alu instid0(VALU_DEP_2) | instskip(NEXT) | instid1(VALU_DEP_2)
	v_add_f64_e32 v[30:31], v[30:31], v[46:47]
	v_add_f64_e32 v[16:17], v[16:17], v[34:35]
	;; [unrolled: 3-line block ×7, first 2 shown]
	s_clause 0x1
	scratch_load_b32 v16, off, off offset:120
	scratch_load_b32 v17, off, off offset:116
	v_add_f64_e32 v[28:29], v[28:29], v[90:91]
	s_wait_loadcnt 0x1
	v_mul_u32_u24_e32 v16, 33, v16
	s_wait_loadcnt 0x0
	s_delay_alu instid0(VALU_DEP_1)
	v_add_lshl_u32 v16, v16, v17, 4
	ds_store_b128 v16, v[4:7] offset:96
	ds_store_b128 v16, v[124:127] offset:384
	;; [unrolled: 1-line block ×9, first 2 shown]
	ds_store_b128 v16, v[28:31]
	ds_store_b128 v16, v[116:119] offset:480
.LBB0_11:
	s_wait_alu 0xfffe
	s_or_b32 exec_lo, exec_lo, s1
	global_wb scope:SCOPE_SE
	s_wait_dscnt 0x0
	s_barrier_signal -1
	s_barrier_wait -1
	global_inv scope:SCOPE_SE
	ds_load_b128 v[128:131], v255
	ds_load_b128 v[148:151], v255 offset:4224
	ds_load_b128 v[144:147], v255 offset:8448
	;; [unrolled: 1-line block ×6, first 2 shown]
	scratch_load_b32 v0, off, off           ; 4-byte Folded Reload
                                        ; implicit-def: $vgpr156_vgpr157
                                        ; implicit-def: $vgpr160_vgpr161
                                        ; implicit-def: $vgpr164_vgpr165
	s_wait_loadcnt 0x0
	v_cmp_gt_u16_e64 s1, 33, v0
	s_delay_alu instid0(VALU_DEP_1)
	s_and_saveexec_b32 s10, s1
	s_cbranch_execz .LBB0_13
; %bb.12:
	ds_load_b128 v[112:115], v255 offset:3696
	ds_load_b128 v[124:127], v255 offset:7920
	;; [unrolled: 1-line block ×7, first 2 shown]
.LBB0_13:
	s_wait_alu 0xfffe
	s_or_b32 exec_lo, exec_lo, s10
	scratch_load_b32 v2, off, off           ; 4-byte Folded Reload
	v_mul_lo_u16 v0, 0xf9, v23
	v_and_b32_e32 v1, 0xffff, v22
	s_mov_b32 s12, 0x36b3c0b5
	s_mov_b32 s14, 0xe976ee23
	;; [unrolled: 1-line block ×3, first 2 shown]
	v_lshrrev_b16 v17, 13, v0
	v_mul_u32_u24_e32 v0, 0xf83f, v1
	s_mov_b32 s13, 0x3fac98ee
	s_mov_b32 s15, 0xbfe11646
	;; [unrolled: 1-line block ×3, first 2 shown]
	v_mul_lo_u16 v1, v17, 33
	v_lshrrev_b32_e32 v0, 21, v0
	s_mov_b32 s20, 0xaaaaaaaa
	s_mov_b32 s22, 0xb247c609
	;; [unrolled: 1-line block ×4, first 2 shown]
	v_mul_lo_u16 v0, v0, 33
	s_mov_b32 s25, 0xbfd5d0dc
	s_wait_alu 0xfffe
	s_mov_b32 s24, s22
	v_and_b32_e32 v17, 0xffff, v17
	v_sub_nc_u16 v0, v22, v0
	s_delay_alu instid0(VALU_DEP_2) | instskip(NEXT) | instid1(VALU_DEP_2)
	v_mul_u32_u24_e32 v17, 0xe7, v17
	v_mul_lo_u16 v3, 0x60, v0
	v_and_b32_e32 v0, 0xffff, v0
	s_delay_alu instid0(VALU_DEP_2) | instskip(NEXT) | instid1(VALU_DEP_1)
	v_and_b32_e32 v3, 0xffff, v3
	v_add_co_u32 v3, s10, s2, v3
	s_wait_alu 0xf1ff
	v_add_co_ci_u32_e64 v4, null, s3, 0, s10
	s_mov_b32 s10, 0x37e14327
	s_mov_b32 s11, 0x3fe948f6
	s_wait_loadcnt 0x0
	v_sub_nc_u16 v1, v2, v1
	s_delay_alu instid0(VALU_DEP_1) | instskip(NEXT) | instid1(VALU_DEP_1)
	v_and_b32_e32 v190, 0xff, v1
	v_mad_co_u64_u32 v[1:2], null, 0x60, v190, s[2:3]
	v_add_lshl_u32 v198, v17, v190, 4
	s_clause 0xb
	global_load_b128 v[100:103], v[1:2], off offset:480
	global_load_b128 v[96:99], v[1:2], off offset:496
	;; [unrolled: 1-line block ×12, first 2 shown]
	global_wb scope:SCOPE_SE
	s_wait_loadcnt_dscnt 0x0
	s_barrier_signal -1
	s_barrier_wait -1
	global_inv scope:SCOPE_SE
	v_mul_f64_e32 v[22:23], v[126:127], v[30:31]
	v_mul_f64_e32 v[168:169], v[124:125], v[30:31]
	v_mul_f64_e32 v[170:171], v[122:123], v[26:27]
	v_mul_f64_e32 v[1:2], v[150:151], v[102:103]
	v_mul_f64_e32 v[3:4], v[148:149], v[102:103]
	v_mul_f64_e32 v[5:6], v[146:147], v[98:99]
	v_mul_f64_e32 v[7:8], v[144:145], v[98:99]
	v_mul_f64_e32 v[9:10], v[154:155], v[94:95]
	v_mul_f64_e32 v[11:12], v[152:153], v[94:95]
	v_mul_f64_e32 v[13:14], v[142:143], v[90:91]
	v_mul_f64_e32 v[15:16], v[140:141], v[90:91]
	v_mul_f64_e32 v[172:173], v[120:121], v[26:27]
	v_mul_f64_e32 v[174:175], v[166:167], v[34:35]
	v_mul_f64_e32 v[176:177], v[164:165], v[34:35]
	v_mul_f64_e32 v[178:179], v[162:163], v[46:47]
	v_mul_f64_e32 v[180:181], v[160:161], v[46:47]
	v_mul_f64_e32 v[182:183], v[138:139], v[110:111]
	v_mul_f64_e32 v[184:185], v[136:137], v[110:111]
	v_mul_f64_e32 v[186:187], v[134:135], v[106:107]
	v_mul_f64_e32 v[188:189], v[132:133], v[106:107]
	v_fma_f64 v[22:23], v[124:125], v[28:29], -v[22:23]
	v_fma_f64 v[124:125], v[126:127], v[28:29], v[168:169]
	v_fma_f64 v[120:121], v[120:121], v[24:25], -v[170:171]
	v_fma_f64 v[1:2], v[148:149], v[100:101], -v[1:2]
	v_fma_f64 v[3:4], v[150:151], v[100:101], v[3:4]
	v_fma_f64 v[5:6], v[144:145], v[96:97], -v[5:6]
	v_fma_f64 v[7:8], v[146:147], v[96:97], v[7:8]
	;; [unrolled: 2-line block ×4, first 2 shown]
	v_mul_f64_e32 v[140:141], v[118:119], v[42:43]
	v_mul_f64_e32 v[142:143], v[116:117], v[42:43]
	;; [unrolled: 1-line block ×4, first 2 shown]
	v_fma_f64 v[122:123], v[122:123], v[24:25], v[172:173]
	v_fma_f64 v[126:127], v[164:165], v[32:33], -v[174:175]
	v_fma_f64 v[148:149], v[166:167], v[32:33], v[176:177]
	v_fma_f64 v[150:151], v[160:161], v[44:45], -v[178:179]
	;; [unrolled: 2-line block ×4, first 2 shown]
	v_fma_f64 v[134:135], v[134:135], v[104:105], v[188:189]
	v_add_f64_e32 v[154:155], v[1:2], v[9:10]
	v_add_f64_e32 v[160:161], v[3:4], v[11:12]
	;; [unrolled: 1-line block ×4, first 2 shown]
	v_fma_f64 v[116:117], v[116:117], v[40:41], -v[140:141]
	v_fma_f64 v[118:119], v[118:119], v[40:41], v[142:143]
	v_fma_f64 v[140:141], v[156:157], v[36:37], -v[144:145]
	v_fma_f64 v[142:143], v[158:159], v[36:37], v[146:147]
	v_add_f64_e64 v[5:6], v[5:6], -v[13:14]
	v_add_f64_e32 v[144:145], v[22:23], v[126:127]
	v_add_f64_e32 v[146:147], v[124:125], v[148:149]
	;; [unrolled: 1-line block ×4, first 2 shown]
	v_add_f64_e64 v[7:8], v[7:8], -v[15:16]
	v_add_f64_e64 v[9:10], v[1:2], -v[9:10]
	v_add_f64_e32 v[166:167], v[136:137], v[132:133]
	v_add_f64_e32 v[168:169], v[138:139], v[134:135]
	v_add_f64_e64 v[13:14], v[132:133], -v[136:137]
	v_add_f64_e64 v[15:16], v[134:135], -v[138:139]
	;; [unrolled: 1-line block ×7, first 2 shown]
	v_add_f64_e32 v[1:2], v[162:163], v[154:155]
	v_add_f64_e32 v[3:4], v[164:165], v[160:161]
	;; [unrolled: 1-line block ×4, first 2 shown]
	v_add_f64_e64 v[116:117], v[140:141], -v[116:117]
	v_add_f64_e64 v[118:119], v[142:143], -v[118:119]
	v_add_f64_e32 v[126:127], v[156:157], v[144:145]
	v_add_f64_e32 v[136:137], v[158:159], v[146:147]
	v_add_f64_e64 v[170:171], v[5:6], -v[9:10]
	v_add_f64_e64 v[138:139], v[154:155], -v[166:167]
	v_add_f64_e64 v[140:141], v[160:161], -v[168:169]
	v_add_f64_e64 v[142:143], v[166:167], -v[162:163]
	v_add_f64_e64 v[148:149], v[168:169], -v[164:165]
	v_add_f64_e64 v[150:151], v[13:14], -v[5:6]
	v_add_f64_e64 v[152:153], v[15:16], -v[7:8]
	v_add_f64_e64 v[172:173], v[7:8], -v[11:12]
	v_add_f64_e64 v[182:183], v[120:121], -v[22:23]
	v_add_f64_e64 v[184:185], v[122:123], -v[124:125]
	v_add_f64_e64 v[154:155], v[162:163], -v[154:155]
	v_add_f64_e64 v[160:161], v[164:165], -v[160:161]
	v_add_f64_e32 v[5:6], v[13:14], v[5:6]
	v_add_f64_e32 v[7:8], v[15:16], v[7:8]
	v_add_f64_e64 v[13:14], v[9:10], -v[13:14]
	v_add_f64_e64 v[15:16], v[11:12], -v[15:16]
	v_add_f64_e32 v[166:167], v[166:167], v[1:2]
	v_add_f64_e32 v[168:169], v[168:169], v[3:4]
	v_add_f64_e64 v[174:175], v[144:145], -v[132:133]
	v_add_f64_e64 v[176:177], v[146:147], -v[134:135]
	;; [unrolled: 1-line block ×4, first 2 shown]
	v_add_f64_e32 v[120:121], v[116:117], v[120:121]
	v_add_f64_e32 v[126:127], v[132:133], v[126:127]
	;; [unrolled: 1-line block ×3, first 2 shown]
	v_add_f64_e64 v[132:133], v[132:133], -v[156:157]
	v_add_f64_e64 v[134:135], v[134:135], -v[158:159]
	v_add_f64_e32 v[122:123], v[118:119], v[122:123]
	s_wait_alu 0xfffe
	v_mul_f64_e32 v[138:139], s[10:11], v[138:139]
	v_mul_f64_e32 v[140:141], s[10:11], v[140:141]
	;; [unrolled: 1-line block ×8, first 2 shown]
	v_add_f64_e64 v[116:117], v[22:23], -v[116:117]
	v_add_f64_e64 v[118:119], v[124:125], -v[118:119]
	;; [unrolled: 1-line block ×4, first 2 shown]
	v_add_f64_e32 v[5:6], v[5:6], v[9:10]
	v_add_f64_e32 v[7:8], v[7:8], v[11:12]
	;; [unrolled: 1-line block ×4, first 2 shown]
	v_mul_f64_e32 v[128:129], s[10:11], v[174:175]
	v_mul_f64_e32 v[130:131], s[10:11], v[176:177]
	;; [unrolled: 1-line block ×6, first 2 shown]
	v_add_f64_e32 v[112:113], v[112:113], v[126:127]
	v_add_f64_e32 v[114:115], v[114:115], v[136:137]
	v_mul_f64_e32 v[156:157], s[12:13], v[132:133]
	v_mul_f64_e32 v[158:159], s[12:13], v[134:135]
	s_mov_b32 s10, 0x5476071b
	s_mov_b32 s11, 0x3fe77f67
	;; [unrolled: 1-line block ×3, first 2 shown]
	s_wait_alu 0xfffe
	s_mov_b32 s14, s10
	v_add_f64_e32 v[9:10], v[120:121], v[22:23]
	v_add_f64_e32 v[11:12], v[122:123], v[124:125]
	v_fma_f64 v[22:23], v[142:143], s[12:13], v[138:139]
	v_fma_f64 v[120:121], v[148:149], s[12:13], v[140:141]
	v_fma_f64 v[122:123], v[154:155], s[10:11], -v[162:163]
	v_fma_f64 v[124:125], v[160:161], s[10:11], -v[164:165]
	v_fma_f64 v[142:143], v[13:14], s[22:23], v[150:151]
	v_fma_f64 v[148:149], v[15:16], s[22:23], v[152:153]
	v_fma_f64 v[150:151], v[170:171], s[18:19], -v[150:151]
	v_fma_f64 v[152:153], v[172:173], s[18:19], -v[152:153]
	;; [unrolled: 1-line block ×4, first 2 shown]
	s_wait_alu 0xfffe
	v_fma_f64 v[138:139], v[154:155], s[14:15], -v[138:139]
	v_fma_f64 v[140:141], v[160:161], s[14:15], -v[140:141]
	v_fma_f64 v[162:163], v[166:167], s[20:21], v[1:2]
	v_fma_f64 v[164:165], v[168:169], s[20:21], v[3:4]
	;; [unrolled: 1-line block ×6, first 2 shown]
	v_fma_f64 v[166:167], v[182:183], s[18:19], -v[174:175]
	v_fma_f64 v[168:169], v[184:185], s[18:19], -v[176:177]
	;; [unrolled: 1-line block ×4, first 2 shown]
	v_fma_f64 v[126:127], v[126:127], s[20:21], v[112:113]
	v_fma_f64 v[136:137], v[136:137], s[20:21], v[114:115]
	v_fma_f64 v[128:129], v[144:145], s[14:15], -v[128:129]
	v_fma_f64 v[130:131], v[146:147], s[14:15], -v[130:131]
	v_fma_f64 v[144:145], v[144:145], s[10:11], -v[156:157]
	v_fma_f64 v[146:147], v[146:147], s[10:11], -v[158:159]
	s_mov_b32 s10, 0x37c3f68c
	s_mov_b32 s11, 0x3fdc38aa
	s_wait_alu 0xfffe
	v_fma_f64 v[142:143], v[5:6], s[10:11], v[142:143]
	v_fma_f64 v[148:149], v[7:8], s[10:11], v[148:149]
	;; [unrolled: 1-line block ×6, first 2 shown]
	v_add_f64_e32 v[22:23], v[22:23], v[162:163]
	v_add_f64_e32 v[170:171], v[120:121], v[164:165]
	;; [unrolled: 1-line block ×6, first 2 shown]
	v_fma_f64 v[164:165], v[9:10], s[10:11], v[154:155]
	v_fma_f64 v[172:173], v[11:12], s[10:11], v[160:161]
	;; [unrolled: 1-line block ×6, first 2 shown]
	v_add_f64_e32 v[132:133], v[132:133], v[126:127]
	v_add_f64_e32 v[134:135], v[134:135], v[136:137]
	;; [unrolled: 1-line block ×7, first 2 shown]
	v_add_f64_e64 v[7:8], v[170:171], -v[142:143]
	v_add_f64_e32 v[9:10], v[158:159], v[120:121]
	v_add_f64_e64 v[11:12], v[138:139], -v[156:157]
	v_add_f64_e64 v[13:14], v[122:123], -v[152:153]
	v_add_f64_e32 v[15:16], v[150:151], v[124:125]
	v_add_f64_e32 v[116:117], v[152:153], v[122:123]
	v_add_f64_e64 v[118:119], v[124:125], -v[150:151]
	v_add_f64_e64 v[120:121], v[120:121], -v[158:159]
	v_add_f64_e32 v[122:123], v[156:157], v[138:139]
	v_add_f64_e64 v[124:125], v[22:23], -v[148:149]
	v_add_f64_e32 v[126:127], v[142:143], v[170:171]
	v_add_f64_e32 v[160:161], v[172:173], v[132:133]
	v_add_f64_e64 v[162:163], v[134:135], -v[164:165]
	v_add_f64_e32 v[152:153], v[174:175], v[128:129]
	v_add_f64_e64 v[154:155], v[130:131], -v[168:169]
	v_add_f64_e64 v[156:157], v[144:145], -v[140:141]
	v_add_f64_e32 v[158:159], v[166:167], v[136:137]
	v_add_f64_e32 v[140:141], v[140:141], v[144:145]
	v_add_f64_e64 v[142:143], v[136:137], -v[166:167]
	v_add_f64_e64 v[144:145], v[128:129], -v[174:175]
	v_add_f64_e32 v[146:147], v[168:169], v[130:131]
	v_add_f64_e64 v[148:149], v[132:133], -v[172:173]
	v_add_f64_e32 v[150:151], v[164:165], v[134:135]
	ds_store_b128 v198, v[1:4]
	ds_store_b128 v198, v[5:8] offset:528
	scratch_store_b32 off, v0, off offset:124 ; 4-byte Folded Spill
	ds_store_b128 v198, v[9:12] offset:1056
	ds_store_b128 v198, v[13:16] offset:1584
	;; [unrolled: 1-line block ×5, first 2 shown]
	s_and_saveexec_b32 s10, s1
	s_cbranch_execz .LBB0_15
; %bb.14:
	scratch_load_b32 v0, off, off offset:124 ; 4-byte Folded Reload
	s_wait_loadcnt 0x0
	v_lshlrev_b32_e32 v0, 4, v0
	ds_store_b128 v0, v[112:115] offset:25872
	ds_store_b128 v0, v[160:163] offset:26400
	;; [unrolled: 1-line block ×7, first 2 shown]
.LBB0_15:
	s_wait_alu 0xfffe
	s_or_b32 exec_lo, exec_lo, s10
	v_lshlrev_b32_e32 v23, 4, v21
	global_wb scope:SCOPE_SE
	s_wait_storecnt_dscnt 0x0
	s_barrier_signal -1
	s_barrier_wait -1
	global_inv scope:SCOPE_SE
	s_clause 0x2
	global_load_b128 v[120:123], v23, s[2:3] offset:3648
	global_load_b128 v[116:119], v23, s[2:3] offset:3664
	;; [unrolled: 1-line block ×3, first 2 shown]
	ds_load_b128 v[0:3], v255 offset:7392
	ds_load_b128 v[4:7], v255 offset:14784
	;; [unrolled: 1-line block ×6, first 2 shown]
	s_wait_loadcnt_dscnt 0x205
	v_mul_f64_e32 v[16:17], v[2:3], v[122:123]
	s_wait_loadcnt_dscnt 0x104
	v_mul_f64_e32 v[132:133], v[6:7], v[118:119]
	;; [unrolled: 2-line block ×3, first 2 shown]
	v_mul_f64_e32 v[21:22], v[0:1], v[122:123]
	v_mul_f64_e32 v[134:135], v[4:5], v[118:119]
	;; [unrolled: 1-line block ×3, first 2 shown]
	s_wait_dscnt 0x2
	v_mul_f64_e32 v[166:167], v[12:13], v[122:123]
	s_wait_dscnt 0x1
	v_mul_f64_e32 v[170:171], v[124:125], v[118:119]
	;; [unrolled: 2-line block ×3, first 2 shown]
	v_mul_f64_e32 v[164:165], v[14:15], v[122:123]
	v_mul_f64_e32 v[168:169], v[126:127], v[118:119]
	;; [unrolled: 1-line block ×3, first 2 shown]
	v_fma_f64 v[16:17], v[0:1], v[120:121], -v[16:17]
	v_fma_f64 v[132:133], v[4:5], v[116:117], -v[132:133]
	;; [unrolled: 1-line block ×3, first 2 shown]
	v_fma_f64 v[21:22], v[2:3], v[120:121], v[21:22]
	v_fma_f64 v[134:135], v[6:7], v[116:117], v[134:135]
	ds_load_b128 v[0:3], v255
	ds_load_b128 v[4:7], v255 offset:3696
	v_fma_f64 v[14:15], v[14:15], v[120:121], v[166:167]
	v_fma_f64 v[126:127], v[126:127], v[116:117], v[170:171]
	;; [unrolled: 1-line block ×3, first 2 shown]
	v_fma_f64 v[12:13], v[12:13], v[120:121], -v[164:165]
	v_fma_f64 v[10:11], v[10:11], v[112:113], v[138:139]
	v_fma_f64 v[124:125], v[124:125], v[116:117], -v[168:169]
	v_fma_f64 v[128:129], v[128:129], v[112:113], -v[172:173]
	s_wait_dscnt 0x1
	v_add_f64_e64 v[132:133], v[0:1], -v[132:133]
	v_add_f64_e64 v[8:9], v[16:17], -v[8:9]
	;; [unrolled: 1-line block ×3, first 2 shown]
	s_wait_dscnt 0x0
	v_add_f64_e64 v[164:165], v[6:7], -v[126:127]
	v_add_f64_e64 v[126:127], v[14:15], -v[130:131]
	;; [unrolled: 1-line block ×5, first 2 shown]
	v_fma_f64 v[130:131], v[0:1], 2.0, -v[132:133]
	v_fma_f64 v[16:17], v[16:17], 2.0, -v[8:9]
	;; [unrolled: 1-line block ×3, first 2 shown]
	v_add_f64_e32 v[2:3], v[134:135], v[8:9]
	v_fma_f64 v[168:169], v[6:7], 2.0, -v[164:165]
	v_fma_f64 v[14:15], v[14:15], 2.0, -v[126:127]
	;; [unrolled: 1-line block ×5, first 2 shown]
	v_add_f64_e64 v[0:1], v[132:133], -v[10:11]
	v_add_f64_e64 v[4:5], v[136:137], -v[126:127]
	;; [unrolled: 1-line block ×3, first 2 shown]
	scratch_load_b32 v16, off, off          ; 4-byte Folded Reload
	v_add_co_u32 v17, s2, s2, v23
	v_fma_f64 v[126:127], v[134:135], 2.0, -v[2:3]
	global_wb scope:SCOPE_SE
	s_wait_loadcnt 0x0
	v_add_f64_e64 v[14:15], v[168:169], -v[14:15]
	s_barrier_signal -1
	v_add_f64_e64 v[10:11], v[138:139], -v[21:22]
	s_wait_alu 0xf1ff
	v_add_co_ci_u32_e64 v21, null, s3, 0, s2
	v_add_f64_e64 v[12:13], v[166:167], -v[6:7]
	v_add_f64_e32 v[6:7], v[164:165], v[124:125]
	v_fma_f64 v[124:125], v[132:133], 2.0, -v[0:1]
	v_fma_f64 v[128:129], v[136:137], 2.0, -v[4:5]
	s_barrier_wait -1
	global_inv scope:SCOPE_SE
	v_fma_f64 v[132:133], v[130:131], 2.0, -v[8:9]
	v_fma_f64 v[134:135], v[138:139], 2.0, -v[10:11]
	;; [unrolled: 1-line block ×5, first 2 shown]
	ds_store_b128 v255, v[8:11] offset:7392
	ds_store_b128 v255, v[0:3] offset:11088
	;; [unrolled: 1-line block ×4, first 2 shown]
	ds_store_b128 v255, v[132:135]
	ds_store_b128 v255, v[124:127] offset:3696
	ds_store_b128 v255, v[136:139] offset:14784
	;; [unrolled: 1-line block ×3, first 2 shown]
	global_wb scope:SCOPE_SE
	s_wait_dscnt 0x0
	s_barrier_signal -1
	s_barrier_wait -1
	global_inv scope:SCOPE_SE
	v_lshlrev_b32_e32 v16, 5, v16
	s_delay_alu instid0(VALU_DEP_1)
	v_sub_co_u32 v16, s2, v17, v16
	s_wait_alu 0xf1ff
	v_subrev_co_ci_u32_e64 v17, s2, 0, v21, s2
	s_add_nc_u64 s[2:3], s[16:17], 0x7380
	s_clause 0x3
	global_load_b128 v[124:127], v[16:17], off offset:14736
	global_load_b128 v[128:131], v[16:17], off offset:18432
	global_load_b128 v[132:135], v[16:17], off offset:22128
	global_load_b128 v[136:139], v[16:17], off offset:25824
	ds_load_b128 v[0:3], v255 offset:14784
	ds_load_b128 v[4:7], v255 offset:18480
	;; [unrolled: 1-line block ×4, first 2 shown]
	s_wait_loadcnt_dscnt 0x303
	v_mul_f64_e32 v[16:17], v[2:3], v[126:127]
	v_mul_f64_e32 v[21:22], v[0:1], v[126:127]
	s_wait_loadcnt_dscnt 0x202
	v_mul_f64_e32 v[164:165], v[6:7], v[130:131]
	v_mul_f64_e32 v[166:167], v[4:5], v[130:131]
	s_wait_loadcnt_dscnt 0x101
	v_mul_f64_e32 v[168:169], v[10:11], v[134:135]
	v_mul_f64_e32 v[170:171], v[8:9], v[134:135]
	s_wait_loadcnt_dscnt 0x0
	v_mul_f64_e32 v[172:173], v[14:15], v[138:139]
	v_mul_f64_e32 v[174:175], v[12:13], v[138:139]
	v_fma_f64 v[16:17], v[0:1], v[124:125], -v[16:17]
	v_fma_f64 v[21:22], v[2:3], v[124:125], v[21:22]
	v_fma_f64 v[164:165], v[4:5], v[128:129], -v[164:165]
	v_fma_f64 v[166:167], v[6:7], v[128:129], v[166:167]
	;; [unrolled: 2-line block ×4, first 2 shown]
	ds_load_b128 v[0:3], v255
	ds_load_b128 v[4:7], v255 offset:3696
	ds_load_b128 v[8:11], v255 offset:7392
	;; [unrolled: 1-line block ×3, first 2 shown]
	s_wait_dscnt 0x3
	v_add_f64_e64 v[172:173], v[0:1], -v[16:17]
	v_add_f64_e64 v[174:175], v[2:3], -v[21:22]
	s_wait_dscnt 0x2
	v_add_f64_e64 v[176:177], v[4:5], -v[164:165]
	v_add_f64_e64 v[178:179], v[6:7], -v[166:167]
	;; [unrolled: 3-line block ×4, first 2 shown]
	v_fma_f64 v[0:1], v[0:1], 2.0, -v[172:173]
	v_fma_f64 v[2:3], v[2:3], 2.0, -v[174:175]
	;; [unrolled: 1-line block ×8, first 2 shown]
	ds_store_b128 v255, v[172:175] offset:14784
	ds_store_b128 v255, v[176:179] offset:18480
	;; [unrolled: 1-line block ×4, first 2 shown]
	ds_store_b128 v255, v[0:3]
	ds_store_b128 v255, v[4:7] offset:3696
	ds_store_b128 v255, v[8:11] offset:7392
	ds_store_b128 v255, v[168:171] offset:11088
	global_wb scope:SCOPE_SE
	s_wait_dscnt 0x0
	s_barrier_signal -1
	s_barrier_wait -1
	global_inv scope:SCOPE_SE
	scratch_load_b64 v[0:1], off, off offset:4 ; 8-byte Folded Reload
	s_wait_loadcnt 0x0
	s_clause 0x5
	global_load_b128 v[0:3], v[0:1], off offset:29568
	global_load_b128 v[4:7], v255, s[2:3] offset:9856
	global_load_b128 v[8:11], v255, s[2:3] offset:19712
	;; [unrolled: 1-line block ×5, first 2 shown]
	ds_load_b128 v[180:183], v255
	ds_load_b128 v[184:187], v255 offset:9856
	ds_load_b128 v[188:191], v255 offset:19712
	ds_load_b128 v[192:195], v255 offset:3696
	ds_load_b128 v[199:202], v255 offset:13552
	ds_load_b128 v[203:206], v255 offset:23408
	s_wait_loadcnt_dscnt 0x505
	v_mul_f64_e32 v[16:17], v[182:183], v[2:3]
	v_mul_f64_e32 v[2:3], v[180:181], v[2:3]
	s_wait_loadcnt_dscnt 0x404
	v_mul_f64_e32 v[21:22], v[186:187], v[6:7]
	v_mul_f64_e32 v[6:7], v[184:185], v[6:7]
	;; [unrolled: 3-line block ×6, first 2 shown]
	v_fma_f64 v[14:15], v[180:181], v[0:1], -v[16:17]
	v_fma_f64 v[16:17], v[182:183], v[0:1], v[2:3]
	v_fma_f64 v[0:1], v[184:185], v[4:5], -v[21:22]
	v_fma_f64 v[2:3], v[186:187], v[4:5], v[6:7]
	;; [unrolled: 2-line block ×6, first 2 shown]
	ds_store_b128 v255, v[14:17]
	ds_store_b128 v255, v[8:11] offset:3696
	ds_store_b128 v255, v[0:3] offset:9856
	;; [unrolled: 1-line block ×5, first 2 shown]
	s_and_saveexec_b32 s10, vcc_lo
	s_cbranch_execz .LBB0_17
; %bb.16:
	s_wait_alu 0xfffe
	v_add_co_u32 v8, s2, s2, v255
	s_wait_alu 0xf1ff
	v_add_co_ci_u32_e64 v9, null, s3, 0, s2
	s_clause 0x2
	global_load_b128 v[0:3], v[8:9], off offset:7392
	global_load_b128 v[4:7], v[8:9], off offset:17248
	;; [unrolled: 1-line block ×3, first 2 shown]
	ds_load_b128 v[12:15], v255 offset:7392
	ds_load_b128 v[172:175], v255 offset:17248
	;; [unrolled: 1-line block ×3, first 2 shown]
	s_wait_loadcnt_dscnt 0x202
	v_mul_f64_e32 v[16:17], v[14:15], v[2:3]
	v_mul_f64_e32 v[2:3], v[12:13], v[2:3]
	s_wait_loadcnt_dscnt 0x101
	v_mul_f64_e32 v[21:22], v[174:175], v[6:7]
	v_mul_f64_e32 v[6:7], v[172:173], v[6:7]
	;; [unrolled: 3-line block ×3, first 2 shown]
	v_fma_f64 v[10:11], v[12:13], v[0:1], -v[16:17]
	v_fma_f64 v[12:13], v[14:15], v[0:1], v[2:3]
	v_fma_f64 v[0:1], v[172:173], v[4:5], -v[21:22]
	v_fma_f64 v[2:3], v[174:175], v[4:5], v[6:7]
	;; [unrolled: 2-line block ×3, first 2 shown]
	ds_store_b128 v255, v[10:13] offset:7392
	ds_store_b128 v255, v[0:3] offset:17248
	;; [unrolled: 1-line block ×3, first 2 shown]
.LBB0_17:
	s_wait_alu 0xfffe
	s_or_b32 exec_lo, exec_lo, s10
	global_wb scope:SCOPE_SE
	s_wait_dscnt 0x0
	s_barrier_signal -1
	s_barrier_wait -1
	global_inv scope:SCOPE_SE
	ds_load_b128 v[184:187], v255
	ds_load_b128 v[180:183], v255 offset:3696
	ds_load_b128 v[192:195], v255 offset:9856
	;; [unrolled: 1-line block ×5, first 2 shown]
	s_and_saveexec_b32 s2, vcc_lo
	s_cbranch_execz .LBB0_19
; %bb.18:
	ds_load_b128 v[168:171], v255 offset:7392
	ds_load_b128 v[164:167], v255 offset:17248
	ds_load_b128 v[160:163], v255 offset:27104
.LBB0_19:
	s_wait_alu 0xfffe
	s_or_b32 exec_lo, exec_lo, s2
	s_wait_dscnt 0x1
	v_add_f64_e32 v[0:1], v[192:193], v[176:177]
	v_add_f64_e32 v[2:3], v[194:195], v[178:179]
	s_wait_dscnt 0x0
	v_add_f64_e32 v[4:5], v[188:189], v[172:173]
	v_add_f64_e32 v[6:7], v[190:191], v[174:175]
	;; [unrolled: 1-line block ×5, first 2 shown]
	v_add_f64_e64 v[14:15], v[194:195], -v[178:179]
	v_add_f64_e32 v[16:17], v[186:187], v[194:195]
	v_add_f64_e32 v[21:22], v[180:181], v[188:189]
	;; [unrolled: 1-line block ×5, first 2 shown]
	v_add_f64_e64 v[201:202], v[192:193], -v[176:177]
	v_add_f64_e64 v[190:191], v[190:191], -v[174:175]
	;; [unrolled: 1-line block ×5, first 2 shown]
	s_mov_b32 s2, 0xe8584caa
	s_mov_b32 s3, 0xbfebb67a
	;; [unrolled: 1-line block ×3, first 2 shown]
	s_wait_alu 0xfffe
	s_mov_b32 s10, s2
	global_wb scope:SCOPE_SE
	s_barrier_signal -1
	s_barrier_wait -1
	global_inv scope:SCOPE_SE
	v_fma_f64 v[0:1], v[0:1], -0.5, v[184:185]
	v_fma_f64 v[2:3], v[2:3], -0.5, v[186:187]
	;; [unrolled: 1-line block ×6, first 2 shown]
	v_add_f64_e32 v[164:165], v[12:13], v[176:177]
	v_add_f64_e32 v[166:167], v[16:17], v[178:179]
	;; [unrolled: 1-line block ×6, first 2 shown]
	v_fma_f64 v[192:193], v[14:15], s[2:3], v[0:1]
	s_wait_alu 0xfffe
	v_fma_f64 v[184:185], v[14:15], s[10:11], v[0:1]
	v_fma_f64 v[194:195], v[201:202], s[10:11], v[2:3]
	;; [unrolled: 1-line block ×11, first 2 shown]
	ds_store_b128 v20, v[164:167]
	ds_store_b128 v20, v[192:195] offset:16
	ds_store_b128 v20, v[184:187] offset:32
	ds_store_b128 v18, v[180:183]
	ds_store_b128 v18, v[172:175] offset:16
	ds_store_b128 v18, v[168:171] offset:32
	s_and_saveexec_b32 s2, vcc_lo
	s_cbranch_execz .LBB0_21
; %bb.20:
	v_lshlrev_b32_e32 v0, 4, v19
	ds_store_b128 v0, v[160:163]
	ds_store_b128 v0, v[176:179] offset:16
	ds_store_b128 v0, v[188:191] offset:32
.LBB0_21:
	s_wait_alu 0xfffe
	s_or_b32 exec_lo, exec_lo, s2
	global_wb scope:SCOPE_SE
	s_wait_dscnt 0x0
	s_barrier_signal -1
	s_barrier_wait -1
	global_inv scope:SCOPE_SE
	s_and_saveexec_b32 s2, s0
	s_cbranch_execz .LBB0_23
; %bb.22:
	ds_load_b128 v[164:167], v255
	ds_load_b128 v[192:195], v255 offset:2688
	ds_load_b128 v[184:187], v255 offset:5376
	;; [unrolled: 1-line block ×10, first 2 shown]
.LBB0_23:
	s_wait_alu 0xfffe
	s_or_b32 exec_lo, exec_lo, s2
	s_wait_dscnt 0x9
	v_mul_f64_e32 v[0:1], v[54:55], v[192:193]
	s_mov_b32 s14, 0xf8bb580b
	s_mov_b32 s15, 0xbfe14ced
	;; [unrolled: 1-line block ×19, first 2 shown]
	s_wait_alu 0xfffe
	s_mov_b32 s26, s28
	s_mov_b32 s24, 0x9bcd5057
	;; [unrolled: 1-line block ×8, first 2 shown]
	s_delay_alu instid0(VALU_DEP_1) | instskip(SKIP_1) | instid1(VALU_DEP_1)
	v_fma_f64 v[2:3], v[52:53], v[194:195], -v[0:1]
	v_mul_f64_e32 v[0:1], v[54:55], v[194:195]
	v_fma_f64 v[194:195], v[52:53], v[192:193], v[0:1]
	s_wait_dscnt 0x0
	v_mul_f64_e32 v[0:1], v[86:87], v[156:157]
	s_delay_alu instid0(VALU_DEP_1) | instskip(SKIP_1) | instid1(VALU_DEP_1)
	v_fma_f64 v[4:5], v[84:85], v[158:159], -v[0:1]
	v_mul_f64_e32 v[0:1], v[86:87], v[158:159]
	v_fma_f64 v[6:7], v[84:85], v[156:157], v[0:1]
	v_mul_f64_e32 v[0:1], v[78:79], v[184:185]
	s_clause 0x1
	scratch_store_b64 off, v[4:5], off offset:128
	scratch_store_b64 off, v[6:7], off offset:136
	v_fma_f64 v[8:9], v[76:77], v[186:187], -v[0:1]
	v_mul_f64_e32 v[0:1], v[78:79], v[186:187]
	v_add_f64_e32 v[237:238], v[6:7], v[194:195]
	v_add_f64_e64 v[22:23], v[194:195], -v[6:7]
	s_delay_alu instid0(VALU_DEP_3) | instskip(SKIP_1) | instid1(VALU_DEP_1)
	v_fma_f64 v[14:15], v[76:77], v[184:185], v[0:1]
	v_mul_f64_e32 v[0:1], v[82:83], v[152:153]
	v_fma_f64 v[10:11], v[80:81], v[154:155], -v[0:1]
	v_mul_f64_e32 v[0:1], v[82:83], v[154:155]
	s_clause 0x1
	scratch_store_b64 off, v[8:9], off offset:144
	scratch_store_b64 off, v[10:11], off offset:152
	v_add_f64_e64 v[215:216], v[8:9], -v[10:11]
	v_fma_f64 v[12:13], v[80:81], v[152:153], v[0:1]
	v_mul_f64_e32 v[0:1], v[62:63], v[180:181]
	s_clause 0x1
	scratch_store_b64 off, v[12:13], off offset:160
	scratch_store_b64 off, v[14:15], off offset:168
	v_fma_f64 v[16:17], v[60:61], v[182:183], -v[0:1]
	v_mul_f64_e32 v[0:1], v[62:63], v[182:183]
	v_mul_f64_e32 v[221:222], s[22:23], v[215:216]
	;; [unrolled: 1-line block ×3, first 2 shown]
	s_wait_alu 0xfffe
	v_mul_f64_e32 v[251:252], s[30:31], v[215:216]
	s_delay_alu instid0(VALU_DEP_4) | instskip(SKIP_1) | instid1(VALU_DEP_1)
	v_fma_f64 v[152:153], v[60:61], v[180:181], v[0:1]
	v_mul_f64_e32 v[0:1], v[74:75], v[188:189]
	v_fma_f64 v[82:83], v[72:73], v[190:191], -v[0:1]
	v_mul_f64_e32 v[0:1], v[74:75], v[190:191]
	s_delay_alu instid0(VALU_DEP_2) | instskip(NEXT) | instid1(VALU_DEP_2)
	v_add_f64_e64 v[217:218], v[16:17], -v[82:83]
	v_fma_f64 v[72:73], v[72:73], v[188:189], v[0:1]
	v_mul_f64_e32 v[0:1], v[50:51], v[172:173]
	v_add_f64_e32 v[188:189], v[16:17], v[82:83]
	s_delay_alu instid0(VALU_DEP_4) | instskip(NEXT) | instid1(VALU_DEP_4)
	v_mul_f64_e32 v[182:183], s[18:19], v[217:218]
	v_add_f64_e64 v[180:181], v[152:153], -v[72:73]
	s_delay_alu instid0(VALU_DEP_4)
	v_fma_f64 v[74:75], v[48:49], v[174:175], -v[0:1]
	v_mul_f64_e32 v[0:1], v[50:51], v[174:175]
	v_add_f64_e32 v[174:175], v[152:153], v[72:73]
	v_mul_f64_e32 v[186:187], s[16:17], v[188:189]
	v_mul_f64_e32 v[225:226], s[28:29], v[217:218]
	;; [unrolled: 1-line block ×4, first 2 shown]
	v_fma_f64 v[158:159], v[48:49], v[172:173], v[0:1]
	v_mul_f64_e32 v[0:1], v[66:67], v[176:177]
	v_mul_f64_e32 v[172:173], s[10:11], v[215:216]
	s_delay_alu instid0(VALU_DEP_2) | instskip(SKIP_2) | instid1(VALU_DEP_3)
	v_fma_f64 v[154:155], v[64:65], v[178:179], -v[0:1]
	v_mul_f64_e32 v[0:1], v[66:67], v[178:179]
	v_add_f64_e32 v[178:179], v[10:11], v[8:9]
	v_add_f64_e64 v[219:220], v[74:75], -v[154:155]
	s_delay_alu instid0(VALU_DEP_3) | instskip(SKIP_1) | instid1(VALU_DEP_4)
	v_fma_f64 v[64:65], v[64:65], v[176:177], v[0:1]
	v_mul_f64_e32 v[0:1], v[58:59], v[168:169]
	v_mul_f64_e32 v[176:177], s[2:3], v[178:179]
	v_add_f64_e32 v[211:212], v[74:75], v[154:155]
	v_mul_f64_e32 v[231:232], s[20:21], v[178:179]
	v_mul_f64_e32 v[249:250], s[24:25], v[178:179]
	;; [unrolled: 1-line block ×3, first 2 shown]
	v_add_f64_e32 v[184:185], v[158:159], v[64:65]
	v_fma_f64 v[66:67], v[56:57], v[170:171], -v[0:1]
	v_mul_f64_e32 v[0:1], v[58:59], v[170:171]
	v_add_f64_e64 v[203:204], v[158:159], -v[64:65]
	v_mul_f64_e32 v[209:210], s[20:21], v[211:212]
	v_mul_f64_e32 v[233:234], s[30:31], v[219:220]
	;; [unrolled: 1-line block ×4, first 2 shown]
	v_fma_f64 v[199:200], v[56:57], v[168:169], v[0:1]
	v_dual_mov_b32 v169, v3 :: v_dual_mov_b32 v168, v2
	v_mul_f64_e32 v[0:1], v[70:71], v[160:161]
	s_delay_alu instid0(VALU_DEP_2) | instskip(SKIP_1) | instid1(VALU_DEP_3)
	v_add_f64_e64 v[241:242], v[168:169], -v[4:5]
	v_add_f64_e32 v[192:193], v[4:5], v[168:169]
	v_fma_f64 v[170:171], v[68:69], v[162:163], -v[0:1]
	v_mul_f64_e32 v[0:1], v[70:71], v[162:163]
	v_add_f64_e32 v[70:71], v[12:13], v[14:15]
	v_add_f64_e64 v[162:163], v[14:15], -v[12:13]
	v_mul_f64_e32 v[229:230], s[14:15], v[241:242]
	v_mul_f64_e32 v[20:21], s[12:13], v[192:193]
	;; [unrolled: 1-line block ×8, first 2 shown]
	v_add_f64_e64 v[223:224], v[66:67], -v[170:171]
	v_fma_f64 v[68:69], v[68:69], v[160:161], v[0:1]
	v_fma_f64 v[2:3], v[70:71], s[2:3], -v[172:173]
	v_fma_f64 v[4:5], v[162:163], s[10:11], v[176:177]
	v_fma_f64 v[0:1], v[237:238], s[12:13], -v[229:230]
	v_add_f64_e32 v[213:214], v[170:171], v[66:67]
	v_mul_f64_e32 v[160:161], s[2:3], v[192:193]
	v_fma_f64 v[10:11], v[162:163], s[30:31], v[12:13]
	v_mul_f64_e32 v[205:206], s[26:27], v[223:224]
	v_add_f64_e32 v[190:191], v[68:69], v[199:200]
	v_add_f64_e64 v[207:208], v[199:200], -v[68:69]
	v_mul_f64_e32 v[235:236], s[36:37], v[223:224]
	v_add_f64_e32 v[0:1], v[164:165], v[0:1]
	v_mul_f64_e32 v[196:197], s[12:13], v[213:214]
	v_mul_f64_e32 v[247:248], s[22:23], v[223:224]
	s_delay_alu instid0(VALU_DEP_3) | instskip(SKIP_1) | instid1(VALU_DEP_1)
	v_add_f64_e32 v[0:1], v[2:3], v[0:1]
	v_fma_f64 v[2:3], v[22:23], s[14:15], v[20:21]
	v_add_f64_e32 v[2:3], v[166:167], v[2:3]
	s_delay_alu instid0(VALU_DEP_1) | instskip(SKIP_1) | instid1(VALU_DEP_1)
	v_add_f64_e32 v[2:3], v[4:5], v[2:3]
	v_fma_f64 v[4:5], v[174:175], s[16:17], -v[182:183]
	v_add_f64_e32 v[0:1], v[4:5], v[0:1]
	v_fma_f64 v[4:5], v[180:181], s[18:19], v[186:187]
	s_delay_alu instid0(VALU_DEP_1) | instskip(SKIP_1) | instid1(VALU_DEP_1)
	v_add_f64_e32 v[2:3], v[4:5], v[2:3]
	v_fma_f64 v[4:5], v[184:185], s[20:21], -v[201:202]
	v_add_f64_e32 v[0:1], v[4:5], v[0:1]
	v_fma_f64 v[4:5], v[203:204], s[22:23], v[209:210]
	s_delay_alu instid0(VALU_DEP_1) | instskip(SKIP_1) | instid1(VALU_DEP_1)
	v_add_f64_e32 v[2:3], v[4:5], v[2:3]
	v_fma_f64 v[4:5], v[190:191], s[24:25], -v[205:206]
	v_add_f64_e32 v[52:53], v[4:5], v[0:1]
	v_mul_f64_e32 v[0:1], s[24:25], v[213:214]
	scratch_store_b64 off, v[16:17], off offset:176 ; 8-byte Folded Spill
	v_fma_f64 v[4:5], v[162:163], s[22:23], v[231:232]
	scratch_store_b64 off, v[0:1], off offset:184 ; 8-byte Folded Spill
	v_fma_f64 v[0:1], v[207:208], s[26:27], v[0:1]
	global_wb scope:SCOPE_SE
	s_wait_storecnt 0x0
	s_barrier_signal -1
	s_barrier_wait -1
	global_inv scope:SCOPE_SE
	v_add_f64_e32 v[54:55], v[0:1], v[2:3]
	v_fma_f64 v[0:1], v[237:238], s[2:3], -v[84:85]
	v_fma_f64 v[2:3], v[70:71], s[20:21], -v[221:222]
	s_delay_alu instid0(VALU_DEP_2) | instskip(NEXT) | instid1(VALU_DEP_1)
	v_add_f64_e32 v[0:1], v[164:165], v[0:1]
	v_add_f64_e32 v[0:1], v[2:3], v[0:1]
	v_fma_f64 v[2:3], v[22:23], s[10:11], v[160:161]
	s_delay_alu instid0(VALU_DEP_1) | instskip(NEXT) | instid1(VALU_DEP_1)
	v_add_f64_e32 v[2:3], v[166:167], v[2:3]
	v_add_f64_e32 v[2:3], v[4:5], v[2:3]
	v_fma_f64 v[4:5], v[174:175], s[24:25], -v[225:226]
	s_delay_alu instid0(VALU_DEP_1) | instskip(SKIP_1) | instid1(VALU_DEP_1)
	v_add_f64_e32 v[0:1], v[4:5], v[0:1]
	v_fma_f64 v[4:5], v[180:181], s[28:29], v[239:240]
	v_add_f64_e32 v[2:3], v[4:5], v[2:3]
	v_fma_f64 v[4:5], v[184:185], s[16:17], -v[233:234]
	s_delay_alu instid0(VALU_DEP_1) | instskip(SKIP_1) | instid1(VALU_DEP_1)
	v_add_f64_e32 v[0:1], v[4:5], v[0:1]
	v_fma_f64 v[4:5], v[203:204], s[30:31], v[245:246]
	v_add_f64_e32 v[2:3], v[4:5], v[2:3]
	v_fma_f64 v[4:5], v[190:191], s[12:13], -v[235:236]
	s_delay_alu instid0(VALU_DEP_1) | instskip(SKIP_2) | instid1(VALU_DEP_2)
	v_add_f64_e32 v[56:57], v[4:5], v[0:1]
	v_fma_f64 v[0:1], v[207:208], s[36:37], v[196:197]
	v_fma_f64 v[4:5], v[162:163], s[28:29], v[249:250]
	v_add_f64_e32 v[58:59], v[0:1], v[2:3]
	v_fma_f64 v[0:1], v[237:238], s[16:17], -v[86:87]
	v_fma_f64 v[2:3], v[70:71], s[24:25], -v[227:228]
	s_delay_alu instid0(VALU_DEP_2) | instskip(NEXT) | instid1(VALU_DEP_1)
	v_add_f64_e32 v[0:1], v[164:165], v[0:1]
	v_add_f64_e32 v[0:1], v[2:3], v[0:1]
	v_fma_f64 v[2:3], v[22:23], s[18:19], v[76:77]
	s_delay_alu instid0(VALU_DEP_1) | instskip(NEXT) | instid1(VALU_DEP_1)
	v_add_f64_e32 v[2:3], v[166:167], v[2:3]
	v_add_f64_e32 v[2:3], v[4:5], v[2:3]
	v_fma_f64 v[4:5], v[174:175], s[2:3], -v[243:244]
	s_delay_alu instid0(VALU_DEP_1) | instskip(SKIP_1) | instid1(VALU_DEP_1)
	v_add_f64_e32 v[4:5], v[4:5], v[0:1]
	v_mul_f64_e32 v[0:1], s[2:3], v[188:189]
	v_fma_f64 v[6:7], v[180:181], s[34:35], v[0:1]
	s_delay_alu instid0(VALU_DEP_1) | instskip(SKIP_1) | instid1(VALU_DEP_1)
	v_add_f64_e32 v[2:3], v[6:7], v[2:3]
	v_fma_f64 v[6:7], v[184:185], s[12:13], -v[253:254]
	v_add_f64_e32 v[4:5], v[6:7], v[4:5]
	v_mul_f64_e32 v[6:7], s[12:13], v[211:212]
	s_delay_alu instid0(VALU_DEP_1) | instskip(NEXT) | instid1(VALU_DEP_1)
	v_fma_f64 v[8:9], v[203:204], s[14:15], v[6:7]
	v_add_f64_e32 v[2:3], v[8:9], v[2:3]
	v_fma_f64 v[8:9], v[190:191], s[20:21], -v[247:248]
	s_delay_alu instid0(VALU_DEP_1) | instskip(SKIP_1) | instid1(VALU_DEP_1)
	v_add_f64_e32 v[60:61], v[8:9], v[4:5]
	v_mul_f64_e32 v[8:9], s[20:21], v[213:214]
	v_fma_f64 v[4:5], v[207:208], s[22:23], v[8:9]
	s_delay_alu instid0(VALU_DEP_1) | instskip(SKIP_2) | instid1(VALU_DEP_2)
	v_add_f64_e32 v[62:63], v[4:5], v[2:3]
	v_fma_f64 v[2:3], v[237:238], s[20:21], -v[78:79]
	v_fma_f64 v[4:5], v[70:71], s[16:17], -v[251:252]
	v_add_f64_e32 v[2:3], v[164:165], v[2:3]
	s_delay_alu instid0(VALU_DEP_1) | instskip(SKIP_1) | instid1(VALU_DEP_1)
	v_add_f64_e32 v[4:5], v[4:5], v[2:3]
	v_fma_f64 v[2:3], v[22:23], s[22:23], v[156:157]
	v_add_f64_e32 v[2:3], v[166:167], v[2:3]
	s_delay_alu instid0(VALU_DEP_1) | instskip(SKIP_1) | instid1(VALU_DEP_1)
	v_add_f64_e32 v[10:11], v[10:11], v[2:3]
	v_mul_f64_e32 v[2:3], s[14:15], v[217:218]
	v_fma_f64 v[14:15], v[174:175], s[12:13], -v[2:3]
	s_delay_alu instid0(VALU_DEP_1) | instskip(SKIP_1) | instid1(VALU_DEP_1)
	v_add_f64_e32 v[4:5], v[14:15], v[4:5]
	v_mul_f64_e32 v[14:15], s[12:13], v[188:189]
	v_fma_f64 v[16:17], v[180:181], s[14:15], v[14:15]
	s_delay_alu instid0(VALU_DEP_1) | instskip(SKIP_1) | instid1(VALU_DEP_1)
	v_add_f64_e32 v[18:19], v[16:17], v[10:11]
	v_mul_f64_e32 v[10:11], s[26:27], v[219:220]
	v_fma_f64 v[16:17], v[184:185], s[24:25], -v[10:11]
	s_delay_alu instid0(VALU_DEP_1) | instskip(SKIP_1) | instid1(VALU_DEP_1)
	v_add_f64_e32 v[48:49], v[16:17], v[4:5]
	v_mul_f64_e32 v[16:17], s[24:25], v[211:212]
	v_fma_f64 v[4:5], v[203:204], s[26:27], v[16:17]
	;; [unrolled: 8-line block ×3, first 2 shown]
	s_delay_alu instid0(VALU_DEP_1)
	v_add_f64_e32 v[50:51], v[80:81], v[50:51]
	s_and_saveexec_b32 s33, s0
	s_cbranch_execz .LBB0_25
; %bb.24:
	v_mul_f64_e32 v[80:81], s[26:27], v[22:23]
	v_add_f64_e32 v[168:169], v[166:167], v[168:169]
	scratch_store_b64 off, v[172:173], off offset:192 ; 8-byte Folded Spill
	v_add_f64_e32 v[194:195], v[164:165], v[194:195]
	v_mul_f64_e32 v[219:220], s[34:35], v[219:220]
	v_mul_f64_e32 v[223:224], s[18:19], v[223:224]
	v_fma_f64 v[172:173], v[192:193], s[24:25], v[80:81]
	scratch_store_b64 off, v[168:169], off offset:200 ; 8-byte Folded Spill
	v_fma_f64 v[80:81], v[192:193], s[24:25], -v[80:81]
	v_mul_f64_e32 v[192:193], s[22:23], v[22:23]
	v_dual_mov_b32 v169, v73 :: v_dual_mov_b32 v168, v72
	v_dual_mov_b32 v72, v82 :: v_dual_mov_b32 v73, v83
	;; [unrolled: 1-line block ×3, first 2 shown]
	v_mul_f64_e32 v[176:177], s[18:19], v[207:208]
	v_add_f64_e32 v[172:173], v[166:167], v[172:173]
	v_add_f64_e32 v[80:81], v[166:167], v[80:81]
	v_add_f64_e64 v[156:157], v[156:157], -v[192:193]
	v_mul_f64_e32 v[192:193], s[18:19], v[22:23]
	s_delay_alu instid0(VALU_DEP_2) | instskip(NEXT) | instid1(VALU_DEP_2)
	v_add_f64_e32 v[156:157], v[166:167], v[156:157]
	v_add_f64_e64 v[76:77], v[76:77], -v[192:193]
	v_mul_f64_e32 v[192:193], s[10:11], v[22:23]
	v_mul_f64_e32 v[22:23], s[14:15], v[22:23]
	s_delay_alu instid0(VALU_DEP_2) | instskip(SKIP_1) | instid1(VALU_DEP_3)
	v_add_f64_e64 v[160:161], v[160:161], -v[192:193]
	v_mul_f64_e32 v[192:193], s[2:3], v[237:238]
	v_add_f64_e64 v[20:21], v[20:21], -v[22:23]
	v_mul_f64_e32 v[22:23], s[26:27], v[241:242]
	s_delay_alu instid0(VALU_DEP_3) | instskip(SKIP_1) | instid1(VALU_DEP_2)
	v_add_f64_e32 v[84:85], v[192:193], v[84:85]
	v_mul_f64_e32 v[192:193], s[16:17], v[237:238]
	v_add_f64_e32 v[84:85], v[164:165], v[84:85]
	s_delay_alu instid0(VALU_DEP_2) | instskip(SKIP_1) | instid1(VALU_DEP_2)
	v_add_f64_e32 v[86:87], v[192:193], v[86:87]
	v_mul_f64_e32 v[192:193], s[20:21], v[237:238]
	v_add_f64_e32 v[86:87], v[164:165], v[86:87]
	s_delay_alu instid0(VALU_DEP_2) | instskip(SKIP_3) | instid1(VALU_DEP_3)
	v_add_f64_e32 v[78:79], v[192:193], v[78:79]
	v_fma_f64 v[192:193], v[237:238], s[24:25], -v[22:23]
	v_fma_f64 v[22:23], v[237:238], s[24:25], v[22:23]
	v_mul_f64_e32 v[237:238], s[12:13], v[237:238]
	v_add_f64_e32 v[192:193], v[164:165], v[192:193]
	s_delay_alu instid0(VALU_DEP_3) | instskip(NEXT) | instid1(VALU_DEP_3)
	v_add_f64_e32 v[241:242], v[164:165], v[22:23]
	v_add_f64_e32 v[229:230], v[237:238], v[229:230]
	;; [unrolled: 1-line block ×7, first 2 shown]
	v_mul_f64_e32 v[229:230], s[36:37], v[162:163]
	s_delay_alu instid0(VALU_DEP_1) | instskip(NEXT) | instid1(VALU_DEP_1)
	v_fma_f64 v[20:21], v[178:179], s[12:13], v[229:230]
	v_add_f64_e32 v[20:21], v[20:21], v[172:173]
	v_mul_f64_e32 v[172:173], s[36:37], v[215:216]
	v_mul_f64_e32 v[215:216], s[22:23], v[217:218]
	;; [unrolled: 1-line block ×3, first 2 shown]
	s_delay_alu instid0(VALU_DEP_3) | instskip(NEXT) | instid1(VALU_DEP_1)
	v_fma_f64 v[22:23], v[70:71], s[12:13], -v[172:173]
	v_add_f64_e32 v[22:23], v[22:23], v[192:193]
	v_mul_f64_e32 v[192:193], s[22:23], v[180:181]
	s_delay_alu instid0(VALU_DEP_1) | instskip(NEXT) | instid1(VALU_DEP_1)
	v_fma_f64 v[78:79], v[188:189], s[20:21], v[192:193]
	v_add_f64_e32 v[20:21], v[78:79], v[20:21]
	v_fma_f64 v[78:79], v[174:175], s[20:21], -v[215:216]
	s_delay_alu instid0(VALU_DEP_1) | instskip(SKIP_1) | instid1(VALU_DEP_1)
	v_add_f64_e32 v[22:23], v[78:79], v[22:23]
	v_fma_f64 v[78:79], v[211:212], s[2:3], v[217:218]
	v_add_f64_e32 v[20:21], v[78:79], v[20:21]
	v_fma_f64 v[78:79], v[184:185], s[2:3], -v[219:220]
	s_delay_alu instid0(VALU_DEP_1) | instskip(SKIP_1) | instid1(VALU_DEP_1)
	v_add_f64_e32 v[78:79], v[78:79], v[22:23]
	;; [unrolled: 5-line block ×3, first 2 shown]
	v_mul_f64_e32 v[78:79], s[22:23], v[162:163]
	v_add_f64_e64 v[78:79], v[231:232], -v[78:79]
	v_mul_f64_e32 v[231:232], s[20:21], v[70:71]
	s_delay_alu instid0(VALU_DEP_2) | instskip(NEXT) | instid1(VALU_DEP_2)
	v_add_f64_e32 v[76:77], v[78:79], v[76:77]
	v_add_f64_e32 v[221:222], v[231:232], v[221:222]
	v_mul_f64_e32 v[231:232], s[28:29], v[180:181]
	s_delay_alu instid0(VALU_DEP_2) | instskip(NEXT) | instid1(VALU_DEP_2)
	v_add_f64_e32 v[78:79], v[221:222], v[84:85]
	v_add_f64_e64 v[231:232], v[239:240], -v[231:232]
	v_mul_f64_e32 v[239:240], s[24:25], v[174:175]
	v_mul_f64_e32 v[84:85], s[36:37], v[207:208]
	s_delay_alu instid0(VALU_DEP_3) | instskip(NEXT) | instid1(VALU_DEP_3)
	v_add_f64_e32 v[76:77], v[231:232], v[76:77]
	v_add_f64_e32 v[225:226], v[239:240], v[225:226]
	v_mul_f64_e32 v[239:240], s[30:31], v[203:204]
	s_delay_alu instid0(VALU_DEP_4) | instskip(SKIP_1) | instid1(VALU_DEP_4)
	v_add_f64_e64 v[84:85], v[196:197], -v[84:85]
	v_mul_f64_e32 v[196:197], s[12:13], v[190:191]
	v_add_f64_e32 v[78:79], v[225:226], v[78:79]
	s_delay_alu instid0(VALU_DEP_4) | instskip(SKIP_1) | instid1(VALU_DEP_4)
	v_add_f64_e64 v[239:240], v[245:246], -v[239:240]
	v_mul_f64_e32 v[245:246], s[16:17], v[184:185]
	v_add_f64_e32 v[196:197], v[196:197], v[235:236]
	v_mul_f64_e32 v[225:226], s[14:15], v[203:204]
	s_delay_alu instid0(VALU_DEP_4) | instskip(NEXT) | instid1(VALU_DEP_4)
	v_add_f64_e32 v[76:77], v[239:240], v[76:77]
	v_add_f64_e32 v[233:234], v[245:246], v[233:234]
	s_delay_alu instid0(VALU_DEP_3) | instskip(SKIP_1) | instid1(VALU_DEP_3)
	v_add_f64_e64 v[6:7], v[6:7], -v[225:226]
	v_mul_f64_e32 v[225:226], s[12:13], v[184:185]
	v_add_f64_e32 v[221:222], v[233:234], v[78:79]
	v_add_f64_e32 v[78:79], v[84:85], v[76:77]
	v_mul_f64_e32 v[84:85], s[28:29], v[162:163]
	s_delay_alu instid0(VALU_DEP_4) | instskip(NEXT) | instid1(VALU_DEP_4)
	v_add_f64_e32 v[225:226], v[225:226], v[253:254]
	v_add_f64_e32 v[76:77], v[196:197], v[221:222]
	v_mul_f64_e32 v[196:197], s[24:25], v[70:71]
	s_delay_alu instid0(VALU_DEP_4) | instskip(SKIP_1) | instid1(VALU_DEP_3)
	v_add_f64_e64 v[84:85], v[249:250], -v[84:85]
	v_mul_f64_e32 v[221:222], s[34:35], v[180:181]
	v_add_f64_e32 v[196:197], v[196:197], v[227:228]
	s_delay_alu instid0(VALU_DEP_3) | instskip(NEXT) | instid1(VALU_DEP_3)
	v_add_f64_e32 v[84:85], v[84:85], v[237:238]
	v_add_f64_e64 v[0:1], v[0:1], -v[221:222]
	v_mul_f64_e32 v[221:222], s[2:3], v[174:175]
	s_delay_alu instid0(VALU_DEP_4) | instskip(SKIP_1) | instid1(VALU_DEP_4)
	v_add_f64_e32 v[86:87], v[196:197], v[86:87]
	v_mul_f64_e32 v[196:197], s[22:23], v[207:208]
	v_add_f64_e32 v[0:1], v[0:1], v[84:85]
	s_delay_alu instid0(VALU_DEP_4) | instskip(NEXT) | instid1(VALU_DEP_3)
	v_add_f64_e32 v[221:222], v[221:222], v[243:244]
	v_add_f64_e64 v[8:9], v[8:9], -v[196:197]
	s_delay_alu instid0(VALU_DEP_3) | instskip(NEXT) | instid1(VALU_DEP_3)
	v_add_f64_e32 v[0:1], v[6:7], v[0:1]
	v_add_f64_e32 v[84:85], v[221:222], v[86:87]
	v_mul_f64_e32 v[86:87], s[20:21], v[190:191]
	s_delay_alu instid0(VALU_DEP_3) | instskip(NEXT) | instid1(VALU_DEP_3)
	v_add_f64_e32 v[8:9], v[8:9], v[0:1]
	v_add_f64_e32 v[6:7], v[225:226], v[84:85]
	v_mul_f64_e32 v[0:1], s[30:31], v[162:163]
	v_mul_f64_e32 v[84:85], s[14:15], v[180:181]
	v_add_f64_e32 v[86:87], v[86:87], v[247:248]
	s_delay_alu instid0(VALU_DEP_3) | instskip(SKIP_1) | instid1(VALU_DEP_4)
	v_add_f64_e64 v[0:1], v[12:13], -v[0:1]
	v_mul_f64_e32 v[12:13], s[16:17], v[70:71]
	v_add_f64_e64 v[14:15], v[14:15], -v[84:85]
	v_mul_f64_e32 v[84:85], s[12:13], v[174:175]
	v_add_f64_e32 v[6:7], v[86:87], v[6:7]
	v_add_f64_e32 v[0:1], v[0:1], v[156:157]
	v_add_f64_e32 v[12:13], v[12:13], v[251:252]
	s_delay_alu instid0(VALU_DEP_4) | instskip(SKIP_1) | instid1(VALU_DEP_4)
	v_add_f64_e32 v[2:3], v[84:85], v[2:3]
	v_mul_f64_e32 v[84:85], s[26:27], v[203:204]
	v_add_f64_e32 v[0:1], v[14:15], v[0:1]
	s_delay_alu instid0(VALU_DEP_4) | instskip(SKIP_1) | instid1(VALU_DEP_4)
	v_add_f64_e32 v[12:13], v[12:13], v[160:161]
	v_fma_f64 v[14:15], v[213:214], s[16:17], -v[176:177]
	v_add_f64_e64 v[16:17], v[16:17], -v[84:85]
	v_mul_f64_e32 v[84:85], s[24:25], v[184:185]
	s_delay_alu instid0(VALU_DEP_4) | instskip(SKIP_1) | instid1(VALU_DEP_4)
	v_add_f64_e32 v[2:3], v[2:3], v[12:13]
	v_mul_f64_e32 v[12:13], s[2:3], v[190:191]
	v_add_f64_e32 v[0:1], v[16:17], v[0:1]
	s_delay_alu instid0(VALU_DEP_4)
	v_add_f64_e32 v[10:11], v[84:85], v[10:11]
	v_mul_f64_e32 v[84:85], s[34:35], v[207:208]
	v_fma_f64 v[16:17], v[70:71], s[12:13], v[172:173]
	v_add_f64_e32 v[4:5], v[12:13], v[4:5]
	v_fma_f64 v[12:13], v[211:212], s[2:3], -v[217:218]
	v_add_f64_e32 v[10:11], v[10:11], v[2:3]
	v_add_f64_e64 v[18:19], v[18:19], -v[84:85]
	v_add_f64_e32 v[16:17], v[16:17], v[241:242]
	v_mul_f64_e32 v[84:85], s[26:27], v[207:208]
	s_delay_alu instid0(VALU_DEP_3) | instskip(SKIP_4) | instid1(VALU_DEP_3)
	v_add_f64_e32 v[2:3], v[18:19], v[0:1]
	v_add_f64_e32 v[0:1], v[4:5], v[10:11]
	v_fma_f64 v[4:5], v[178:179], s[12:13], -v[229:230]
	v_fma_f64 v[10:11], v[188:189], s[20:21], -v[192:193]
	v_mul_f64_e32 v[18:19], s[16:17], v[174:175]
	v_add_f64_e32 v[4:5], v[4:5], v[80:81]
	v_mul_f64_e32 v[80:81], s[20:21], v[184:185]
	s_delay_alu instid0(VALU_DEP_3) | instskip(NEXT) | instid1(VALU_DEP_3)
	v_add_f64_e32 v[18:19], v[18:19], v[182:183]
	v_add_f64_e32 v[4:5], v[10:11], v[4:5]
	v_fma_f64 v[10:11], v[174:175], s[20:21], v[215:216]
	s_delay_alu instid0(VALU_DEP_4) | instskip(NEXT) | instid1(VALU_DEP_3)
	v_add_f64_e32 v[80:81], v[80:81], v[201:202]
	v_add_f64_e32 v[4:5], v[12:13], v[4:5]
	s_delay_alu instid0(VALU_DEP_3) | instskip(SKIP_2) | instid1(VALU_DEP_2)
	v_add_f64_e32 v[10:11], v[10:11], v[16:17]
	v_fma_f64 v[12:13], v[184:185], s[2:3], v[219:220]
	v_fma_f64 v[16:17], v[190:191], s[16:17], v[223:224]
	v_add_f64_e32 v[10:11], v[12:13], v[10:11]
	v_add_f64_e32 v[12:13], v[14:15], v[4:5]
	v_mul_f64_e32 v[4:5], s[10:11], v[162:163]
	v_mul_f64_e32 v[14:15], s[2:3], v[70:71]
	;; [unrolled: 1-line block ×3, first 2 shown]
	v_add_f64_e32 v[10:11], v[16:17], v[10:11]
	scratch_load_b64 v[16:17], off, off offset:192 th:TH_LOAD_LU ; 8-byte Folded Reload
	v_add_f64_e64 v[4:5], v[82:83], -v[4:5]
	scratch_load_b64 v[82:83], off, off offset:184 th:TH_LOAD_LU ; 8-byte Folded Reload
	v_add_f64_e64 v[70:71], v[209:210], -v[70:71]
	v_add_f64_e32 v[4:5], v[4:5], v[166:167]
	s_wait_loadcnt 0x1
	v_add_f64_e32 v[14:15], v[14:15], v[16:17]
	v_mul_f64_e32 v[16:17], s[18:19], v[180:181]
	s_wait_loadcnt 0x0
	v_add_f64_e64 v[84:85], v[82:83], -v[84:85]
	s_delay_alu instid0(VALU_DEP_3) | instskip(NEXT) | instid1(VALU_DEP_3)
	v_add_f64_e32 v[14:15], v[14:15], v[164:165]
	v_add_f64_e64 v[16:17], v[186:187], -v[16:17]
	s_delay_alu instid0(VALU_DEP_2) | instskip(NEXT) | instid1(VALU_DEP_2)
	v_add_f64_e32 v[14:15], v[18:19], v[14:15]
	v_add_f64_e32 v[4:5], v[16:17], v[4:5]
	v_mul_f64_e32 v[16:17], s[24:25], v[190:191]
	s_delay_alu instid0(VALU_DEP_3) | instskip(NEXT) | instid1(VALU_DEP_3)
	v_add_f64_e32 v[14:15], v[80:81], v[14:15]
	v_add_f64_e32 v[4:5], v[70:71], v[4:5]
	s_delay_alu instid0(VALU_DEP_3) | instskip(NEXT) | instid1(VALU_DEP_2)
	v_add_f64_e32 v[18:19], v[16:17], v[205:206]
	v_add_f64_e32 v[16:17], v[84:85], v[4:5]
	s_delay_alu instid0(VALU_DEP_2)
	v_add_f64_e32 v[14:15], v[18:19], v[14:15]
	s_clause 0x2
	scratch_load_b64 v[4:5], off, off offset:144 th:TH_LOAD_LU
	scratch_load_b64 v[18:19], off, off offset:200 th:TH_LOAD_LU
	;; [unrolled: 1-line block ×3, first 2 shown]
	s_wait_loadcnt 0x1
	v_add_f64_e32 v[4:5], v[4:5], v[18:19]
	scratch_load_b64 v[18:19], off, off offset:168 th:TH_LOAD_LU ; 8-byte Folded Reload
	s_wait_loadcnt 0x0
	v_add_f64_e32 v[18:19], v[18:19], v[194:195]
	s_delay_alu instid0(VALU_DEP_1) | instskip(NEXT) | instid1(VALU_DEP_1)
	v_add_f64_e32 v[18:19], v[152:153], v[18:19]
	v_add_f64_e32 v[18:19], v[158:159], v[18:19]
	s_delay_alu instid0(VALU_DEP_1) | instskip(NEXT) | instid1(VALU_DEP_1)
	v_add_f64_e32 v[18:19], v[199:200], v[18:19]
	v_add_f64_e32 v[18:19], v[68:69], v[18:19]
	s_delay_alu instid0(VALU_DEP_1) | instskip(SKIP_3) | instid1(VALU_DEP_2)
	v_add_f64_e32 v[18:19], v[64:65], v[18:19]
	scratch_load_b64 v[64:65], off, off offset:152 th:TH_LOAD_LU ; 8-byte Folded Reload
	v_add_f64_e32 v[4:5], v[70:71], v[4:5]
	v_add_f64_e32 v[18:19], v[168:169], v[18:19]
	;; [unrolled: 1-line block ×3, first 2 shown]
	s_delay_alu instid0(VALU_DEP_1) | instskip(NEXT) | instid1(VALU_DEP_1)
	v_add_f64_e32 v[4:5], v[66:67], v[4:5]
	v_add_f64_e32 v[4:5], v[170:171], v[4:5]
	s_delay_alu instid0(VALU_DEP_1) | instskip(NEXT) | instid1(VALU_DEP_1)
	v_add_f64_e32 v[4:5], v[154:155], v[4:5]
	v_add_f64_e32 v[4:5], v[72:73], v[4:5]
	s_wait_loadcnt 0x0
	s_delay_alu instid0(VALU_DEP_1)
	v_add_f64_e32 v[4:5], v[64:65], v[4:5]
	scratch_load_b64 v[64:65], off, off offset:160 th:TH_LOAD_LU ; 8-byte Folded Reload
	s_wait_loadcnt 0x0
	v_add_f64_e32 v[18:19], v[64:65], v[18:19]
	scratch_load_b64 v[64:65], off, off offset:128 th:TH_LOAD_LU ; 8-byte Folded Reload
	s_wait_loadcnt 0x0
	;; [unrolled: 3-line block ×3, first 2 shown]
	v_add_f64_e32 v[64:65], v[4:5], v[18:19]
	s_clause 0x1
	scratch_load_b32 v4, off, off offset:120 th:TH_LOAD_LU
	scratch_load_b32 v5, off, off offset:116 th:TH_LOAD_LU
	s_wait_loadcnt 0x1
	v_mul_u32_u24_e32 v4, 33, v4
	s_wait_loadcnt 0x0
	s_delay_alu instid0(VALU_DEP_1)
	v_add_lshl_u32 v4, v4, v5, 4
	ds_store_b128 v4, v[76:79] offset:96
	ds_store_b128 v4, v[60:63] offset:384
	;; [unrolled: 1-line block ×9, first 2 shown]
	ds_store_b128 v4, v[64:67]
	ds_store_b128 v4, v[52:55] offset:480
.LBB0_25:
	s_or_b32 exec_lo, exec_lo, s33
	global_wb scope:SCOPE_SE
	s_wait_storecnt_dscnt 0x0
	s_barrier_signal -1
	s_barrier_wait -1
	global_inv scope:SCOPE_SE
	ds_load_b128 v[64:67], v255
	ds_load_b128 v[84:87], v255 offset:4224
	ds_load_b128 v[80:83], v255 offset:8448
	;; [unrolled: 1-line block ×6, first 2 shown]
	s_and_saveexec_b32 s0, s1
	s_cbranch_execz .LBB0_27
; %bb.26:
	ds_load_b128 v[48:51], v255 offset:3696
	ds_load_b128 v[60:63], v255 offset:7920
	;; [unrolled: 1-line block ×7, first 2 shown]
.LBB0_27:
	s_wait_alu 0xfffe
	s_or_b32 exec_lo, exec_lo, s0
	s_wait_dscnt 0x5
	v_mul_f64_e32 v[0:1], v[102:103], v[86:87]
	v_mul_f64_e32 v[2:3], v[102:103], v[84:85]
	s_wait_dscnt 0x4
	v_mul_f64_e32 v[4:5], v[98:99], v[82:83]
	v_mul_f64_e32 v[6:7], v[98:99], v[80:81]
	;; [unrolled: 3-line block ×3, first 2 shown]
	v_mul_f64_e32 v[12:13], v[90:91], v[78:79]
	v_mul_f64_e32 v[14:15], v[90:91], v[76:77]
	;; [unrolled: 1-line block ×6, first 2 shown]
	s_mov_b32 s10, 0x37e14327
	s_mov_b32 s14, 0xe976ee23
	;; [unrolled: 1-line block ×16, first 2 shown]
	s_wait_alu 0xfffe
	s_mov_b32 s20, s16
	s_mov_b32 s24, s22
	;; [unrolled: 1-line block ×4, first 2 shown]
	global_wb scope:SCOPE_SE
	s_barrier_signal -1
	s_barrier_wait -1
	global_inv scope:SCOPE_SE
	v_fma_f64 v[0:1], v[100:101], v[84:85], v[0:1]
	v_fma_f64 v[2:3], v[100:101], v[86:87], -v[2:3]
	v_fma_f64 v[4:5], v[96:97], v[80:81], v[4:5]
	v_fma_f64 v[6:7], v[96:97], v[82:83], -v[6:7]
	;; [unrolled: 2-line block ×6, first 2 shown]
	v_add_f64_e32 v[68:69], v[0:1], v[8:9]
	v_add_f64_e32 v[70:71], v[2:3], v[10:11]
	;; [unrolled: 1-line block ×4, first 2 shown]
	v_add_f64_e64 v[4:5], v[4:5], -v[12:13]
	v_add_f64_e64 v[6:7], v[6:7], -v[14:15]
	v_add_f64_e32 v[12:13], v[16:17], v[20:21]
	v_add_f64_e32 v[14:15], v[18:19], v[22:23]
	v_add_f64_e64 v[16:17], v[20:21], -v[16:17]
	v_add_f64_e64 v[18:19], v[22:23], -v[18:19]
	v_add_f64_e64 v[8:9], v[0:1], -v[8:9]
	v_add_f64_e64 v[10:11], v[2:3], -v[10:11]
	v_add_f64_e32 v[0:1], v[72:73], v[68:69]
	v_add_f64_e32 v[2:3], v[74:75], v[70:71]
	v_add_f64_e64 v[20:21], v[68:69], -v[12:13]
	v_add_f64_e64 v[22:23], v[70:71], -v[14:15]
	;; [unrolled: 1-line block ×6, first 2 shown]
	v_add_f64_e32 v[4:5], v[16:17], v[4:5]
	v_add_f64_e32 v[6:7], v[18:19], v[6:7]
	v_add_f64_e64 v[16:17], v[8:9], -v[16:17]
	v_add_f64_e64 v[18:19], v[10:11], -v[18:19]
	v_add_f64_e32 v[84:85], v[12:13], v[0:1]
	v_add_f64_e32 v[86:87], v[14:15], v[2:3]
	v_add_f64_e64 v[12:13], v[12:13], -v[72:73]
	v_add_f64_e64 v[14:15], v[14:15], -v[74:75]
	v_mul_f64_e32 v[20:21], s[10:11], v[20:21]
	v_mul_f64_e32 v[22:23], s[10:11], v[22:23]
	;; [unrolled: 1-line block ×6, first 2 shown]
	v_add_f64_e32 v[4:5], v[4:5], v[8:9]
	v_add_f64_e32 v[6:7], v[6:7], v[10:11]
	;; [unrolled: 1-line block ×4, first 2 shown]
	v_add_f64_e64 v[64:65], v[72:73], -v[68:69]
	v_add_f64_e64 v[66:67], v[74:75], -v[70:71]
	v_mul_f64_e32 v[68:69], s[18:19], v[12:13]
	v_mul_f64_e32 v[70:71], s[18:19], v[14:15]
	v_fma_f64 v[8:9], v[12:13], s[18:19], v[20:21]
	v_fma_f64 v[10:11], v[14:15], s[18:19], v[22:23]
	;; [unrolled: 1-line block ×4, first 2 shown]
	v_fma_f64 v[72:73], v[80:81], s[2:3], -v[76:77]
	v_fma_f64 v[74:75], v[82:83], s[2:3], -v[78:79]
	s_wait_alu 0xfffe
	v_fma_f64 v[16:17], v[16:17], s[24:25], -v[88:89]
	v_fma_f64 v[18:19], v[18:19], s[24:25], -v[90:91]
	v_fma_f64 v[76:77], v[84:85], s[12:13], v[0:1]
	v_fma_f64 v[78:79], v[86:87], s[12:13], v[2:3]
	v_fma_f64 v[20:21], v[64:65], s[20:21], -v[20:21]
	v_fma_f64 v[22:23], v[66:67], s[20:21], -v[22:23]
	;; [unrolled: 1-line block ×4, first 2 shown]
	v_fma_f64 v[68:69], v[4:5], s[26:27], v[12:13]
	v_fma_f64 v[70:71], v[6:7], s[26:27], v[14:15]
	;; [unrolled: 1-line block ×6, first 2 shown]
	v_add_f64_e32 v[84:85], v[8:9], v[76:77]
	v_add_f64_e32 v[86:87], v[10:11], v[78:79]
	;; [unrolled: 1-line block ×7, first 2 shown]
	v_add_f64_e64 v[6:7], v[86:87], -v[68:69]
	v_add_f64_e32 v[8:9], v[82:83], v[20:21]
	v_add_f64_e64 v[10:11], v[22:23], -v[80:81]
	v_add_f64_e64 v[12:13], v[16:17], -v[74:75]
	v_add_f64_e32 v[14:15], v[72:73], v[18:19]
	v_add_f64_e32 v[16:17], v[74:75], v[16:17]
	v_add_f64_e64 v[18:19], v[18:19], -v[72:73]
	v_add_f64_e64 v[20:21], v[20:21], -v[82:83]
	v_add_f64_e32 v[22:23], v[80:81], v[22:23]
	v_add_f64_e64 v[64:65], v[84:85], -v[70:71]
	v_add_f64_e32 v[66:67], v[68:69], v[86:87]
	ds_store_b128 v198, v[0:3]
	ds_store_b128 v198, v[4:7] offset:528
	ds_store_b128 v198, v[8:11] offset:1056
	ds_store_b128 v198, v[12:15] offset:1584
	ds_store_b128 v198, v[16:19] offset:2112
	ds_store_b128 v198, v[20:23] offset:2640
	ds_store_b128 v198, v[64:67] offset:3168
	s_and_saveexec_b32 s0, s1
	s_cbranch_execz .LBB0_29
; %bb.28:
	v_mul_f64_e32 v[0:1], v[34:35], v[148:149]
	v_mul_f64_e32 v[2:3], v[30:31], v[60:61]
	;; [unrolled: 1-line block ×12, first 2 shown]
	v_fma_f64 v[0:1], v[32:33], v[150:151], -v[0:1]
	v_fma_f64 v[2:3], v[28:29], v[62:63], -v[2:3]
	;; [unrolled: 1-line block ×4, first 2 shown]
	v_fma_f64 v[8:9], v[28:29], v[60:61], v[8:9]
	v_fma_f64 v[10:11], v[32:33], v[148:149], v[10:11]
	v_fma_f64 v[12:13], v[24:25], v[56:57], v[12:13]
	v_fma_f64 v[14:15], v[44:45], v[144:145], v[14:15]
	v_fma_f64 v[16:17], v[36:37], v[140:141], v[16:17]
	v_fma_f64 v[18:19], v[40:41], v[52:53], v[18:19]
	v_fma_f64 v[20:21], v[40:41], v[54:55], -v[20:21]
	v_fma_f64 v[22:23], v[36:37], v[142:143], -v[22:23]
	v_add_f64_e32 v[24:25], v[2:3], v[0:1]
	v_add_f64_e32 v[26:27], v[6:7], v[4:5]
	v_add_f64_e64 v[4:5], v[6:7], -v[4:5]
	v_add_f64_e32 v[28:29], v[8:9], v[10:11]
	v_add_f64_e64 v[8:9], v[8:9], -v[10:11]
	;; [unrolled: 2-line block ×3, first 2 shown]
	v_add_f64_e64 v[32:33], v[16:17], -v[18:19]
	v_add_f64_e32 v[16:17], v[18:19], v[16:17]
	v_add_f64_e32 v[14:15], v[20:21], v[22:23]
	v_add_f64_e64 v[18:19], v[22:23], -v[20:21]
	v_add_f64_e64 v[6:7], v[2:3], -v[0:1]
	v_add_f64_e32 v[10:11], v[26:27], v[24:25]
	v_add_f64_e32 v[0:1], v[30:31], v[28:29]
	v_add_f64_e64 v[34:35], v[12:13], -v[8:9]
	v_add_f64_e64 v[2:3], v[32:33], -v[12:13]
	;; [unrolled: 1-line block ×7, first 2 shown]
	v_add_f64_e32 v[12:13], v[32:33], v[12:13]
	v_add_f64_e32 v[4:5], v[18:19], v[4:5]
	v_add_f64_e64 v[18:19], v[6:7], -v[18:19]
	v_add_f64_e64 v[24:25], v[26:27], -v[24:25]
	;; [unrolled: 1-line block ×3, first 2 shown]
	v_add_f64_e32 v[10:11], v[14:15], v[10:11]
	v_add_f64_e64 v[14:15], v[14:15], -v[26:27]
	v_add_f64_e32 v[40:41], v[16:17], v[0:1]
	v_add_f64_e64 v[16:17], v[16:17], -v[30:31]
	v_mul_f64_e32 v[32:33], s[14:15], v[2:3]
	v_mul_f64_e32 v[22:23], s[10:11], v[22:23]
	;; [unrolled: 1-line block ×6, first 2 shown]
	v_add_f64_e32 v[8:9], v[12:13], v[8:9]
	v_add_f64_e32 v[4:5], v[4:5], v[6:7]
	;; [unrolled: 1-line block ×3, first 2 shown]
	v_mul_f64_e32 v[26:27], s[18:19], v[14:15]
	v_add_f64_e32 v[0:1], v[48:49], v[40:41]
	v_mul_f64_e32 v[30:31], s[18:19], v[16:17]
	v_fma_f64 v[6:7], v[42:43], s[22:23], v[32:33]
	v_fma_f64 v[32:33], v[34:35], s[2:3], -v[32:33]
	v_fma_f64 v[12:13], v[14:15], s[18:19], v[20:21]
	v_fma_f64 v[14:15], v[16:17], s[18:19], v[22:23]
	v_fma_f64 v[16:17], v[42:43], s[24:25], -v[44:45]
	v_fma_f64 v[20:21], v[24:25], s[20:21], -v[20:21]
	;; [unrolled: 1-line block ×4, first 2 shown]
	v_fma_f64 v[10:11], v[10:11], s[12:13], v[2:3]
	v_fma_f64 v[24:25], v[24:25], s[16:17], -v[26:27]
	v_fma_f64 v[26:27], v[18:19], s[22:23], v[36:37]
	v_fma_f64 v[18:19], v[18:19], s[24:25], -v[46:47]
	;; [unrolled: 2-line block ×3, first 2 shown]
	v_fma_f64 v[30:31], v[8:9], s[26:27], v[6:7]
	v_fma_f64 v[16:17], v[8:9], s[26:27], v[16:17]
	;; [unrolled: 1-line block ×3, first 2 shown]
	v_add_f64_e32 v[12:13], v[12:13], v[10:11]
	v_add_f64_e32 v[20:21], v[20:21], v[10:11]
	v_fma_f64 v[32:33], v[4:5], s[26:27], v[26:27]
	v_fma_f64 v[38:39], v[4:5], s[26:27], v[18:19]
	;; [unrolled: 1-line block ×3, first 2 shown]
	v_add_f64_e32 v[28:29], v[28:29], v[36:37]
	v_add_f64_e32 v[24:25], v[24:25], v[10:11]
	;; [unrolled: 1-line block ×6, first 2 shown]
	v_add_f64_e64 v[22:23], v[20:21], -v[16:17]
	v_add_f64_e64 v[26:27], v[12:13], -v[30:31]
	;; [unrolled: 1-line block ×3, first 2 shown]
	v_add_f64_e32 v[12:13], v[4:5], v[28:29]
	scratch_load_b32 v28, off, off offset:124 th:TH_LOAD_LU ; 4-byte Folded Reload
	v_add_f64_e64 v[14:15], v[24:25], -v[8:9]
	v_add_f64_e32 v[18:19], v[8:9], v[24:25]
	v_add_f64_e32 v[24:25], v[32:33], v[34:35]
	;; [unrolled: 1-line block ×3, first 2 shown]
	v_add_f64_e64 v[8:9], v[40:41], -v[38:39]
	v_add_f64_e64 v[4:5], v[34:35], -v[32:33]
	s_wait_loadcnt 0x0
	v_lshlrev_b32_e32 v28, 4, v28
	ds_store_b128 v28, v[0:3] offset:25872
	ds_store_b128 v28, v[24:27] offset:26400
	;; [unrolled: 1-line block ×7, first 2 shown]
.LBB0_29:
	s_wait_alu 0xfffe
	s_or_b32 exec_lo, exec_lo, s0
	global_wb scope:SCOPE_SE
	s_wait_dscnt 0x0
	s_barrier_signal -1
	s_barrier_wait -1
	global_inv scope:SCOPE_SE
	ds_load_b128 v[0:3], v255 offset:7392
	ds_load_b128 v[4:7], v255 offset:14784
	ds_load_b128 v[8:11], v255 offset:22176
	ds_load_b128 v[12:15], v255 offset:11088
	ds_load_b128 v[16:19], v255 offset:18480
	ds_load_b128 v[20:23], v255 offset:25872
	s_mov_b32 s2, 0x4046ed29
	s_mov_b32 s3, 0x3f41bb4a
	s_wait_dscnt 0x5
	v_mul_f64_e32 v[24:25], v[122:123], v[2:3]
	v_mul_f64_e32 v[26:27], v[122:123], v[0:1]
	s_wait_dscnt 0x4
	v_mul_f64_e32 v[28:29], v[118:119], v[6:7]
	v_mul_f64_e32 v[30:31], v[118:119], v[4:5]
	;; [unrolled: 3-line block ×6, first 2 shown]
	v_fma_f64 v[24:25], v[120:121], v[0:1], v[24:25]
	v_fma_f64 v[26:27], v[120:121], v[2:3], -v[26:27]
	v_fma_f64 v[28:29], v[116:117], v[4:5], v[28:29]
	v_fma_f64 v[30:31], v[116:117], v[6:7], -v[30:31]
	;; [unrolled: 2-line block ×6, first 2 shown]
	ds_load_b128 v[0:3], v255
	ds_load_b128 v[4:7], v255 offset:3696
	global_wb scope:SCOPE_SE
	s_wait_dscnt 0x0
	s_barrier_signal -1
	s_barrier_wait -1
	global_inv scope:SCOPE_SE
	v_add_f64_e64 v[28:29], v[0:1], -v[28:29]
	v_add_f64_e64 v[30:31], v[2:3], -v[30:31]
	;; [unrolled: 1-line block ×8, first 2 shown]
	v_fma_f64 v[22:23], v[0:1], 2.0, -v[28:29]
	v_fma_f64 v[36:37], v[2:3], 2.0, -v[30:31]
	;; [unrolled: 1-line block ×4, first 2 shown]
	v_add_f64_e32 v[0:1], v[28:29], v[10:11]
	v_add_f64_e64 v[2:3], v[30:31], -v[8:9]
	v_fma_f64 v[38:39], v[4:5], 2.0, -v[32:33]
	v_fma_f64 v[40:41], v[6:7], 2.0, -v[34:35]
	;; [unrolled: 1-line block ×4, first 2 shown]
	v_add_f64_e32 v[4:5], v[32:33], v[18:19]
	v_add_f64_e64 v[8:9], v[22:23], -v[20:21]
	v_add_f64_e64 v[10:11], v[36:37], -v[24:25]
	v_fma_f64 v[18:19], v[30:31], 2.0, -v[2:3]
	v_add_f64_e64 v[12:13], v[38:39], -v[6:7]
	v_add_f64_e64 v[14:15], v[40:41], -v[14:15]
	;; [unrolled: 1-line block ×3, first 2 shown]
	v_fma_f64 v[16:17], v[28:29], 2.0, -v[0:1]
	v_fma_f64 v[20:21], v[32:33], 2.0, -v[4:5]
	;; [unrolled: 1-line block ×7, first 2 shown]
	ds_store_b128 v255, v[8:11] offset:7392
	ds_store_b128 v255, v[0:3] offset:11088
	;; [unrolled: 1-line block ×4, first 2 shown]
	ds_store_b128 v255, v[24:27]
	ds_store_b128 v255, v[16:19] offset:3696
	ds_store_b128 v255, v[28:31] offset:14784
	;; [unrolled: 1-line block ×3, first 2 shown]
	global_wb scope:SCOPE_SE
	s_wait_dscnt 0x0
	s_barrier_signal -1
	s_barrier_wait -1
	global_inv scope:SCOPE_SE
	ds_load_b128 v[0:3], v255 offset:14784
	ds_load_b128 v[4:7], v255 offset:18480
	;; [unrolled: 1-line block ×4, first 2 shown]
	s_wait_dscnt 0x3
	v_mul_f64_e32 v[16:17], v[126:127], v[2:3]
	v_mul_f64_e32 v[18:19], v[126:127], v[0:1]
	s_wait_dscnt 0x2
	v_mul_f64_e32 v[20:21], v[130:131], v[6:7]
	v_mul_f64_e32 v[22:23], v[130:131], v[4:5]
	;; [unrolled: 3-line block ×4, first 2 shown]
	v_fma_f64 v[16:17], v[124:125], v[0:1], v[16:17]
	v_fma_f64 v[18:19], v[124:125], v[2:3], -v[18:19]
	v_fma_f64 v[20:21], v[128:129], v[4:5], v[20:21]
	v_fma_f64 v[22:23], v[128:129], v[6:7], -v[22:23]
	;; [unrolled: 2-line block ×4, first 2 shown]
	ds_load_b128 v[0:3], v255
	ds_load_b128 v[4:7], v255 offset:3696
	ds_load_b128 v[8:11], v255 offset:7392
	;; [unrolled: 1-line block ×3, first 2 shown]
	s_wait_dscnt 0x3
	v_add_f64_e64 v[16:17], v[0:1], -v[16:17]
	v_add_f64_e64 v[18:19], v[2:3], -v[18:19]
	s_wait_dscnt 0x2
	v_add_f64_e64 v[20:21], v[4:5], -v[20:21]
	v_add_f64_e64 v[22:23], v[6:7], -v[22:23]
	;; [unrolled: 3-line block ×4, first 2 shown]
	v_fma_f64 v[0:1], v[0:1], 2.0, -v[16:17]
	v_fma_f64 v[2:3], v[2:3], 2.0, -v[18:19]
	;; [unrolled: 1-line block ×8, first 2 shown]
	ds_store_b128 v255, v[16:19] offset:14784
	ds_store_b128 v255, v[20:23] offset:18480
	;; [unrolled: 1-line block ×4, first 2 shown]
	ds_store_b128 v255, v[0:3]
	ds_store_b128 v255, v[4:7] offset:3696
	ds_store_b128 v255, v[8:11] offset:7392
	;; [unrolled: 1-line block ×3, first 2 shown]
	global_wb scope:SCOPE_SE
	s_wait_dscnt 0x0
	s_barrier_signal -1
	s_barrier_wait -1
	global_inv scope:SCOPE_SE
	ds_load_b128 v[0:3], v255
	ds_load_b128 v[4:7], v255 offset:9856
	ds_load_b128 v[8:11], v255 offset:19712
	;; [unrolled: 1-line block ×5, first 2 shown]
	s_clause 0x2
	scratch_load_b128 v[57:60], off, off offset:52 th:TH_LOAD_LU
	scratch_load_b128 v[51:54], off, off offset:20 th:TH_LOAD_LU
	scratch_load_b64 v[48:49], off, off offset:12 th:TH_LOAD_LU
	s_wait_loadcnt_dscnt 0x205
	v_mul_f64_e32 v[24:25], v[59:60], v[2:3]
	v_mul_f64_e32 v[26:27], v[59:60], v[0:1]
	s_wait_loadcnt_dscnt 0x104
	v_mul_f64_e32 v[28:29], v[53:54], v[6:7]
	v_mul_f64_e32 v[30:31], v[53:54], v[4:5]
	s_clause 0x1
	scratch_load_b128 v[53:56], off, off offset:36 th:TH_LOAD_LU
	scratch_load_b128 v[59:62], off, off offset:68 th:TH_LOAD_LU
	v_fma_f64 v[0:1], v[57:58], v[0:1], v[24:25]
	v_fma_f64 v[24:25], v[57:58], v[2:3], -v[26:27]
	v_fma_f64 v[26:27], v[51:52], v[4:5], v[28:29]
	v_fma_f64 v[28:29], v[51:52], v[6:7], -v[30:31]
	scratch_load_b32 v6, off, off th:TH_LOAD_LU ; 4-byte Folded Reload
	s_wait_loadcnt 0x3
	v_mov_b32_e32 v50, v48
	s_delay_alu instid0(VALU_DEP_1) | instskip(NEXT) | instid1(VALU_DEP_1)
	v_mad_co_u64_u32 v[48:49], null, s6, v50, 0
	v_mov_b32_e32 v4, v49
	s_delay_alu instid0(VALU_DEP_1) | instskip(SKIP_3) | instid1(VALU_DEP_1)
	v_mad_co_u64_u32 v[4:5], null, s7, v50, v[4:5]
	s_mul_u64 s[6:7], s[4:5], 0x268
	s_wait_alu 0xfffe
	s_lshl_b64 s[6:7], s[6:7], 4
	v_mov_b32_e32 v49, v4
	s_wait_loadcnt_dscnt 0x203
	v_mul_f64_e32 v[32:33], v[55:56], v[10:11]
	s_wait_loadcnt_dscnt 0x102
	v_mul_f64_e32 v[36:37], v[61:62], v[14:15]
	v_mul_f64_e32 v[38:39], v[61:62], v[12:13]
	scratch_load_b128 v[61:64], off, off offset:84 th:TH_LOAD_LU ; 16-byte Folded Reload
	v_mul_f64_e32 v[34:35], v[55:56], v[8:9]
	v_fma_f64 v[30:31], v[53:54], v[8:9], v[32:33]
	s_wait_loadcnt 0x1
	v_mad_co_u64_u32 v[2:3], null, s4, v6, 0
	v_mul_f64_e32 v[8:9], s[2:3], v[28:29]
	s_delay_alu instid0(VALU_DEP_4) | instskip(SKIP_4) | instid1(VALU_DEP_2)
	v_fma_f64 v[32:33], v[53:54], v[10:11], -v[34:35]
	v_fma_f64 v[34:35], v[59:60], v[12:13], v[36:37]
	v_fma_f64 v[36:37], v[59:60], v[14:15], -v[38:39]
	v_mad_co_u64_u32 v[5:6], null, s5, v6, v[3:4]
	v_mul_f64_e32 v[6:7], s[2:3], v[26:27]
	v_mov_b32_e32 v3, v5
	v_mul_f64_e32 v[4:5], s[2:3], v[24:25]
	v_mul_f64_e32 v[10:11], s[2:3], v[30:31]
	;; [unrolled: 1-line block ×4, first 2 shown]
	s_wait_loadcnt_dscnt 0x1
	v_mul_f64_e32 v[40:41], v[63:64], v[18:19]
	v_mul_f64_e32 v[42:43], v[63:64], v[16:17]
	scratch_load_b128 v[63:66], off, off offset:100 th:TH_LOAD_LU ; 16-byte Folded Reload
	v_fma_f64 v[38:39], v[61:62], v[16:17], v[40:41]
	v_fma_f64 v[40:41], v[61:62], v[18:19], -v[42:43]
	v_mul_f64_e32 v[16:17], s[2:3], v[36:37]
	s_delay_alu instid0(VALU_DEP_3) | instskip(SKIP_3) | instid1(VALU_DEP_2)
	v_mul_f64_e32 v[18:19], s[2:3], v[38:39]
	s_wait_loadcnt_dscnt 0x0
	v_mul_f64_e32 v[44:45], v[65:66], v[22:23]
	v_mul_f64_e32 v[46:47], v[65:66], v[20:21]
	v_fma_f64 v[42:43], v[63:64], v[20:21], v[44:45]
	s_delay_alu instid0(VALU_DEP_2) | instskip(SKIP_4) | instid1(VALU_DEP_4)
	v_fma_f64 v[44:45], v[63:64], v[22:23], -v[46:47]
	v_lshlrev_b64_e32 v[46:47], 4, v[48:49]
	v_lshlrev_b64_e32 v[48:49], 4, v[2:3]
	v_mul_f64_e32 v[2:3], s[2:3], v[0:1]
	v_mul_f64_e32 v[20:21], s[2:3], v[40:41]
	v_add_co_u32 v0, s0, s8, v46
	s_wait_alu 0xf1ff
	v_add_co_ci_u32_e64 v1, s0, s9, v47, s0
	s_movk_i32 s8, 0xfc17
	s_delay_alu instid0(VALU_DEP_2) | instskip(SKIP_1) | instid1(VALU_DEP_2)
	v_add_co_u32 v26, s0, v0, v48
	s_wait_alu 0xf1ff
	v_add_co_ci_u32_e64 v27, s0, v1, v49, s0
	s_mov_b32 s9, -1
	s_wait_alu 0xfffe
	v_add_co_u32 v28, s0, v26, s6
	s_wait_alu 0xf1ff
	v_add_co_ci_u32_e64 v29, s0, s7, v27, s0
	s_mul_u64 s[4:5], s[4:5], s[8:9]
	s_delay_alu instid0(VALU_DEP_2) | instskip(SKIP_1) | instid1(VALU_DEP_2)
	v_add_co_u32 v30, s0, v28, s6
	s_wait_alu 0xf1ff
	v_add_co_ci_u32_e64 v31, s0, s7, v29, s0
	s_wait_alu 0xfffe
	s_lshl_b64 s[4:5], s[4:5], 4
	s_wait_alu 0xfffe
	v_add_co_u32 v32, s0, v30, s4
	s_wait_alu 0xf1ff
	v_add_co_ci_u32_e64 v33, s0, s5, v31, s0
	s_delay_alu instid0(VALU_DEP_2) | instskip(SKIP_1) | instid1(VALU_DEP_2)
	v_add_co_u32 v34, s0, v32, s6
	s_wait_alu 0xf1ff
	v_add_co_ci_u32_e64 v35, s0, s7, v33, s0
	v_mul_f64_e32 v[22:23], s[2:3], v[42:43]
	v_mul_f64_e32 v[24:25], s[2:3], v[44:45]
	v_add_co_u32 v0, s0, v34, s6
	s_wait_alu 0xf1ff
	v_add_co_ci_u32_e64 v1, s0, s7, v35, s0
	s_clause 0x4
	global_store_b128 v[26:27], v[2:5], off
	global_store_b128 v[28:29], v[6:9], off
	;; [unrolled: 1-line block ×6, first 2 shown]
	s_and_b32 exec_lo, exec_lo, vcc_lo
	s_cbranch_execz .LBB0_31
; %bb.30:
	scratch_load_b64 v[10:11], off, off offset:4 th:TH_LOAD_LU ; 8-byte Folded Reload
	v_add_co_u32 v0, vcc_lo, v0, s4
	s_wait_alu 0xfffd
	v_add_co_ci_u32_e32 v1, vcc_lo, s5, v1, vcc_lo
	s_wait_loadcnt 0x0
	s_clause 0x2
	global_load_b128 v[2:5], v[10:11], off offset:7392
	global_load_b128 v[6:9], v[10:11], off offset:17248
	;; [unrolled: 1-line block ×3, first 2 shown]
	ds_load_b128 v[14:17], v255 offset:7392
	ds_load_b128 v[18:21], v255 offset:17248
	;; [unrolled: 1-line block ×3, first 2 shown]
	s_wait_loadcnt_dscnt 0x202
	v_mul_f64_e32 v[26:27], v[16:17], v[4:5]
	v_mul_f64_e32 v[4:5], v[14:15], v[4:5]
	s_wait_loadcnt_dscnt 0x101
	v_mul_f64_e32 v[28:29], v[20:21], v[8:9]
	v_mul_f64_e32 v[8:9], v[18:19], v[8:9]
	s_wait_loadcnt_dscnt 0x0
	v_mul_f64_e32 v[30:31], v[24:25], v[12:13]
	v_mul_f64_e32 v[12:13], v[22:23], v[12:13]
	v_fma_f64 v[14:15], v[14:15], v[2:3], v[26:27]
	v_fma_f64 v[4:5], v[2:3], v[16:17], -v[4:5]
	v_fma_f64 v[16:17], v[18:19], v[6:7], v[28:29]
	v_fma_f64 v[8:9], v[6:7], v[20:21], -v[8:9]
	;; [unrolled: 2-line block ×3, first 2 shown]
	v_mul_f64_e32 v[2:3], s[2:3], v[14:15]
	v_mul_f64_e32 v[4:5], s[2:3], v[4:5]
	;; [unrolled: 1-line block ×6, first 2 shown]
	v_add_co_u32 v14, vcc_lo, v0, s6
	s_wait_alu 0xfffd
	v_add_co_ci_u32_e32 v15, vcc_lo, s7, v1, vcc_lo
	s_delay_alu instid0(VALU_DEP_2) | instskip(SKIP_1) | instid1(VALU_DEP_2)
	v_add_co_u32 v16, vcc_lo, v14, s6
	s_wait_alu 0xfffd
	v_add_co_ci_u32_e32 v17, vcc_lo, s7, v15, vcc_lo
	global_store_b128 v[0:1], v[2:5], off
	global_store_b128 v[14:15], v[6:9], off
	;; [unrolled: 1-line block ×3, first 2 shown]
.LBB0_31:
	s_nop 0
	s_sendmsg sendmsg(MSG_DEALLOC_VGPRS)
	s_endpgm
	.section	.rodata,"a",@progbits
	.p2align	6, 0x0
	.amdhsa_kernel bluestein_single_back_len1848_dim1_dp_op_CI_CI
		.amdhsa_group_segment_fixed_size 29568
		.amdhsa_private_segment_fixed_size 212
		.amdhsa_kernarg_size 104
		.amdhsa_user_sgpr_count 2
		.amdhsa_user_sgpr_dispatch_ptr 0
		.amdhsa_user_sgpr_queue_ptr 0
		.amdhsa_user_sgpr_kernarg_segment_ptr 1
		.amdhsa_user_sgpr_dispatch_id 0
		.amdhsa_user_sgpr_private_segment_size 0
		.amdhsa_wavefront_size32 1
		.amdhsa_uses_dynamic_stack 0
		.amdhsa_enable_private_segment 1
		.amdhsa_system_sgpr_workgroup_id_x 1
		.amdhsa_system_sgpr_workgroup_id_y 0
		.amdhsa_system_sgpr_workgroup_id_z 0
		.amdhsa_system_sgpr_workgroup_info 0
		.amdhsa_system_vgpr_workitem_id 0
		.amdhsa_next_free_vgpr 256
		.amdhsa_next_free_sgpr 42
		.amdhsa_reserve_vcc 1
		.amdhsa_float_round_mode_32 0
		.amdhsa_float_round_mode_16_64 0
		.amdhsa_float_denorm_mode_32 3
		.amdhsa_float_denorm_mode_16_64 3
		.amdhsa_fp16_overflow 0
		.amdhsa_workgroup_processor_mode 1
		.amdhsa_memory_ordered 1
		.amdhsa_forward_progress 0
		.amdhsa_round_robin_scheduling 0
		.amdhsa_exception_fp_ieee_invalid_op 0
		.amdhsa_exception_fp_denorm_src 0
		.amdhsa_exception_fp_ieee_div_zero 0
		.amdhsa_exception_fp_ieee_overflow 0
		.amdhsa_exception_fp_ieee_underflow 0
		.amdhsa_exception_fp_ieee_inexact 0
		.amdhsa_exception_int_div_zero 0
	.end_amdhsa_kernel
	.text
.Lfunc_end0:
	.size	bluestein_single_back_len1848_dim1_dp_op_CI_CI, .Lfunc_end0-bluestein_single_back_len1848_dim1_dp_op_CI_CI
                                        ; -- End function
	.section	.AMDGPU.csdata,"",@progbits
; Kernel info:
; codeLenInByte = 16496
; NumSgprs: 44
; NumVgprs: 256
; ScratchSize: 212
; MemoryBound: 0
; FloatMode: 240
; IeeeMode: 1
; LDSByteSize: 29568 bytes/workgroup (compile time only)
; SGPRBlocks: 5
; VGPRBlocks: 31
; NumSGPRsForWavesPerEU: 44
; NumVGPRsForWavesPerEU: 256
; Occupancy: 5
; WaveLimiterHint : 1
; COMPUTE_PGM_RSRC2:SCRATCH_EN: 1
; COMPUTE_PGM_RSRC2:USER_SGPR: 2
; COMPUTE_PGM_RSRC2:TRAP_HANDLER: 0
; COMPUTE_PGM_RSRC2:TGID_X_EN: 1
; COMPUTE_PGM_RSRC2:TGID_Y_EN: 0
; COMPUTE_PGM_RSRC2:TGID_Z_EN: 0
; COMPUTE_PGM_RSRC2:TIDIG_COMP_CNT: 0
	.text
	.p2alignl 7, 3214868480
	.fill 96, 4, 3214868480
	.type	__hip_cuid_9085ad6bc005b020,@object ; @__hip_cuid_9085ad6bc005b020
	.section	.bss,"aw",@nobits
	.globl	__hip_cuid_9085ad6bc005b020
__hip_cuid_9085ad6bc005b020:
	.byte	0                               ; 0x0
	.size	__hip_cuid_9085ad6bc005b020, 1

	.ident	"AMD clang version 19.0.0git (https://github.com/RadeonOpenCompute/llvm-project roc-6.4.0 25133 c7fe45cf4b819c5991fe208aaa96edf142730f1d)"
	.section	".note.GNU-stack","",@progbits
	.addrsig
	.addrsig_sym __hip_cuid_9085ad6bc005b020
	.amdgpu_metadata
---
amdhsa.kernels:
  - .args:
      - .actual_access:  read_only
        .address_space:  global
        .offset:         0
        .size:           8
        .value_kind:     global_buffer
      - .actual_access:  read_only
        .address_space:  global
        .offset:         8
        .size:           8
        .value_kind:     global_buffer
      - .actual_access:  read_only
        .address_space:  global
        .offset:         16
        .size:           8
        .value_kind:     global_buffer
      - .actual_access:  read_only
        .address_space:  global
        .offset:         24
        .size:           8
        .value_kind:     global_buffer
      - .actual_access:  read_only
        .address_space:  global
        .offset:         32
        .size:           8
        .value_kind:     global_buffer
      - .offset:         40
        .size:           8
        .value_kind:     by_value
      - .address_space:  global
        .offset:         48
        .size:           8
        .value_kind:     global_buffer
      - .address_space:  global
        .offset:         56
        .size:           8
        .value_kind:     global_buffer
      - .address_space:  global
        .offset:         64
        .size:           8
        .value_kind:     global_buffer
      - .address_space:  global
        .offset:         72
        .size:           8
        .value_kind:     global_buffer
      - .offset:         80
        .size:           4
        .value_kind:     by_value
      - .address_space:  global
        .offset:         88
        .size:           8
        .value_kind:     global_buffer
      - .address_space:  global
        .offset:         96
        .size:           8
        .value_kind:     global_buffer
    .group_segment_fixed_size: 29568
    .kernarg_segment_align: 8
    .kernarg_segment_size: 104
    .language:       OpenCL C
    .language_version:
      - 2
      - 0
    .max_flat_workgroup_size: 231
    .name:           bluestein_single_back_len1848_dim1_dp_op_CI_CI
    .private_segment_fixed_size: 212
    .sgpr_count:     44
    .sgpr_spill_count: 0
    .symbol:         bluestein_single_back_len1848_dim1_dp_op_CI_CI.kd
    .uniform_work_group_size: 1
    .uses_dynamic_stack: false
    .vgpr_count:     256
    .vgpr_spill_count: 52
    .wavefront_size: 32
    .workgroup_processor_mode: 1
amdhsa.target:   amdgcn-amd-amdhsa--gfx1201
amdhsa.version:
  - 1
  - 2
...

	.end_amdgpu_metadata
